;; amdgpu-corpus repo=ROCm/rocFFT kind=compiled arch=gfx1030 opt=O3
	.text
	.amdgcn_target "amdgcn-amd-amdhsa--gfx1030"
	.amdhsa_code_object_version 6
	.protected	bluestein_single_fwd_len187_dim1_sp_op_CI_CI ; -- Begin function bluestein_single_fwd_len187_dim1_sp_op_CI_CI
	.globl	bluestein_single_fwd_len187_dim1_sp_op_CI_CI
	.p2align	8
	.type	bluestein_single_fwd_len187_dim1_sp_op_CI_CI,@function
bluestein_single_fwd_len187_dim1_sp_op_CI_CI: ; @bluestein_single_fwd_len187_dim1_sp_op_CI_CI
; %bb.0:
	s_load_dwordx4 s[0:3], s[4:5], 0x28
	v_mul_u32_u24_e32 v1, 0xf10, v0
	v_lshrrev_b32_e32 v1, 16, v1
	v_mad_u64_u32 v[52:53], null, s6, 7, v[1:2]
	v_mov_b32_e32 v53, 0
	s_waitcnt lgkmcnt(0)
	v_cmp_gt_u64_e32 vcc_lo, s[0:1], v[52:53]
	s_and_saveexec_b32 s0, vcc_lo
	s_cbranch_execz .LBB0_15
; %bb.1:
	v_mul_hi_u32 v2, 0x24924925, v52
	v_mul_lo_u16 v1, v1, 17
	s_clause 0x1
	s_load_dwordx2 s[6:7], s[4:5], 0x0
	s_load_dwordx2 s[12:13], s[4:5], 0x38
	v_sub_nc_u16 v0, v0, v1
	v_sub_nc_u32_e32 v3, v52, v2
	v_and_b32_e32 v71, 0xffff, v0
	v_cmp_gt_u16_e32 vcc_lo, 11, v0
	v_lshrrev_b32_e32 v3, 1, v3
	v_lshlrev_b32_e32 v70, 3, v71
	v_or_b32_e32 v69, 0xb0, v71
	v_add_nc_u32_e32 v2, v3, v2
	v_lshrrev_b32_e32 v2, 2, v2
	v_mul_lo_u32 v2, v2, 7
	v_sub_nc_u32_e32 v1, v52, v2
	v_mul_u32_u24_e32 v50, 0xbb, v1
	v_lshlrev_b32_e32 v72, 3, v50
	s_and_saveexec_b32 s1, vcc_lo
	s_cbranch_execz .LBB0_3
; %bb.2:
	s_load_dwordx2 s[8:9], s[4:5], 0x18
	v_lshl_add_u32 v51, v71, 3, v72
	v_add_nc_u32_e32 v79, v72, v70
	s_waitcnt lgkmcnt(0)
	s_load_dwordx4 s[8:11], s[8:9], 0x0
	s_clause 0xb
	global_load_dwordx2 v[2:3], v70, s[6:7]
	global_load_dwordx2 v[4:5], v70, s[6:7] offset:88
	global_load_dwordx2 v[6:7], v70, s[6:7] offset:176
	;; [unrolled: 1-line block ×11, first 2 shown]
	s_waitcnt lgkmcnt(0)
	v_mad_u64_u32 v[0:1], null, s10, v52, 0
	v_mad_u64_u32 v[10:11], null, s8, v71, 0
	s_mul_i32 s0, s9, 0x58
	s_mul_hi_u32 s10, s8, 0x58
	s_add_i32 s10, s10, s0
	s_waitcnt vmcnt(7)
	v_mad_u64_u32 v[31:32], null, s9, v71, v[11:12]
	s_clause 0x2
	global_load_dwordx2 v[32:33], v70, s[6:7] offset:1056
	global_load_dwordx2 v[34:35], v70, s[6:7] offset:1144
	;; [unrolled: 1-line block ×3, first 2 shown]
	v_mad_u64_u32 v[28:29], null, s11, v52, v[1:2]
	v_mad_u64_u32 v[29:30], null, s8, v69, 0
	s_mulk_i32 s8, 0x58
	v_mov_b32_e32 v11, v31
	v_mov_b32_e32 v1, v28
	;; [unrolled: 1-line block ×3, first 2 shown]
	v_lshlrev_b64 v[10:11], 3, v[10:11]
	v_lshlrev_b64 v[0:1], 3, v[0:1]
	v_mad_u64_u32 v[30:31], null, s9, v69, v[28:29]
	v_add_co_u32 v31, s0, s2, v0
	v_add_co_ci_u32_e64 v38, s0, s3, v1, s0
	v_add_co_u32 v0, s0, v31, v10
	v_add_co_ci_u32_e64 v1, s0, v38, v11, s0
	v_lshlrev_b64 v[10:11], 3, v[29:30]
	v_add_co_u32 v28, s0, v0, s8
	v_add_co_ci_u32_e64 v29, s0, s10, v1, s0
	global_load_dwordx2 v[0:1], v[0:1], off
	v_add_co_u32 v10, s0, v31, v10
	v_add_co_ci_u32_e64 v11, s0, v38, v11, s0
	v_add_co_u32 v30, s0, v28, s8
	v_add_co_ci_u32_e64 v31, s0, s10, v29, s0
	global_load_dwordx2 v[10:11], v[10:11], off
	v_add_co_u32 v38, s0, v30, s8
	v_add_co_ci_u32_e64 v39, s0, s10, v31, s0
	v_add_co_u32 v40, s0, v38, s8
	v_add_co_ci_u32_e64 v41, s0, s10, v39, s0
	s_clause 0x2
	global_load_dwordx2 v[28:29], v[28:29], off
	global_load_dwordx2 v[30:31], v[30:31], off
	;; [unrolled: 1-line block ×3, first 2 shown]
	v_add_co_u32 v42, s0, v40, s8
	v_add_co_ci_u32_e64 v43, s0, s10, v41, s0
	global_load_dwordx2 v[40:41], v[40:41], off
	v_add_co_u32 v44, s0, v42, s8
	v_add_co_ci_u32_e64 v45, s0, s10, v43, s0
	global_load_dwordx2 v[42:43], v[42:43], off
	;; [unrolled: 3-line block ×11, first 2 shown]
	s_clause 0x1
	global_load_dwordx2 v[67:68], v70, s[6:7] offset:1232
	global_load_dwordx2 v[73:74], v70, s[6:7] offset:1320
	global_load_dwordx2 v[65:66], v[65:66], off
	s_waitcnt vmcnt(18)
	v_mul_f32_e32 v76, v0, v3
	v_mul_f32_e32 v75, v1, v3
	v_fma_f32 v76, v1, v2, -v76
	v_fmac_f32_e32 v75, v0, v2
	s_waitcnt vmcnt(17)
	v_mul_f32_e32 v3, v11, v37
	v_mul_f32_e32 v37, v10, v37
	ds_write_b64 v51, v[75:76]
	v_fmac_f32_e32 v3, v10, v36
	s_waitcnt vmcnt(16)
	v_mul_f32_e32 v0, v29, v5
	v_mul_f32_e32 v1, v28, v5
	s_waitcnt vmcnt(15)
	v_mul_f32_e32 v2, v30, v7
	v_mul_f32_e32 v77, v31, v7
	v_fmac_f32_e32 v0, v28, v4
	v_fma_f32 v1, v29, v4, -v1
	v_fma_f32 v78, v31, v6, -v2
	v_fmac_f32_e32 v77, v30, v6
	s_waitcnt vmcnt(14)
	v_mul_f32_e32 v4, v39, v9
	v_mul_f32_e32 v2, v38, v9
	s_waitcnt vmcnt(13)
	v_mul_f32_e32 v6, v41, v13
	ds_write2_b64 v79, v[0:1], v[77:78] offset0:11 offset1:22
	v_fmac_f32_e32 v4, v38, v8
	v_fma_f32 v5, v39, v8, -v2
	v_mul_f32_e32 v1, v40, v13
	s_waitcnt vmcnt(12)
	v_mul_f32_e32 v0, v43, v15
	v_mul_f32_e32 v2, v42, v15
	s_waitcnt vmcnt(11)
	v_mul_f32_e32 v8, v45, v17
	v_mul_f32_e32 v9, v44, v17
	v_fmac_f32_e32 v6, v40, v12
	v_fma_f32 v7, v41, v12, -v1
	v_fmac_f32_e32 v0, v42, v14
	v_fma_f32 v1, v43, v14, -v2
	;; [unrolled: 2-line block ×3, first 2 shown]
	s_waitcnt vmcnt(10)
	v_mul_f32_e32 v2, v46, v19
	ds_write2_b64 v79, v[4:5], v[6:7] offset0:33 offset1:44
	v_mul_f32_e32 v12, v47, v19
	s_waitcnt vmcnt(9)
	v_mul_f32_e32 v5, v49, v21
	ds_write2_b64 v79, v[0:1], v[8:9] offset0:55 offset1:66
	v_fma_f32 v13, v47, v18, -v2
	v_mul_f32_e32 v1, v48, v21
	s_waitcnt vmcnt(8)
	v_mul_f32_e32 v2, v53, v23
	v_mul_f32_e32 v0, v54, v23
	v_fmac_f32_e32 v12, v46, v18
	s_waitcnt vmcnt(7)
	v_mul_f32_e32 v4, v55, v25
	v_fma_f32 v6, v49, v20, -v1
	v_fma_f32 v1, v54, v22, -v2
	v_mul_f32_e32 v7, v56, v25
	v_fmac_f32_e32 v5, v48, v20
	v_fma_f32 v8, v56, v24, -v4
	s_waitcnt vmcnt(6)
	v_mul_f32_e32 v2, v57, v27
	v_mul_f32_e32 v9, v58, v27
	v_fmac_f32_e32 v0, v53, v22
	v_fmac_f32_e32 v7, v55, v24
	s_waitcnt vmcnt(5)
	v_mul_f32_e32 v4, v59, v33
	v_mul_f32_e32 v14, v60, v33
	v_fma_f32 v10, v58, v26, -v2
	v_fmac_f32_e32 v9, v57, v26
	s_waitcnt vmcnt(4)
	v_mul_f32_e32 v16, v62, v35
	v_fma_f32 v15, v60, v32, -v4
	v_mul_f32_e32 v2, v61, v35
	s_waitcnt vmcnt(2)
	v_mul_f32_e32 v18, v64, v68
	v_mul_f32_e32 v4, v63, v68
	s_waitcnt vmcnt(0)
	v_mul_f32_e32 v20, v66, v74
	v_mul_f32_e32 v21, v65, v74
	v_fmac_f32_e32 v14, v59, v32
	v_fmac_f32_e32 v16, v61, v34
	v_fma_f32 v17, v62, v34, -v2
	v_fmac_f32_e32 v18, v63, v67
	v_fma_f32 v19, v64, v67, -v4
	;; [unrolled: 2-line block ×3, first 2 shown]
	v_fma_f32 v4, v11, v36, -v37
	ds_write2_b64 v79, v[12:13], v[5:6] offset0:77 offset1:88
	ds_write2_b64 v79, v[0:1], v[7:8] offset0:99 offset1:110
	ds_write2_b64 v79, v[9:10], v[14:15] offset0:121 offset1:132
	ds_write2_b64 v79, v[16:17], v[18:19] offset0:143 offset1:154
	ds_write2_b64 v79, v[20:21], v[3:4] offset0:165 offset1:176
.LBB0_3:
	s_or_b32 exec_lo, exec_lo, s1
	s_clause 0x1
	s_load_dwordx2 s[0:1], s[4:5], 0x20
	s_load_dwordx2 s[4:5], s[4:5], 0x8
	v_mov_b32_e32 v12, 0
	v_mov_b32_e32 v13, 0
	s_waitcnt lgkmcnt(0)
	s_barrier
	buffer_gl0_inv
                                        ; implicit-def: $vgpr30
                                        ; implicit-def: $vgpr24
                                        ; implicit-def: $vgpr20
                                        ; implicit-def: $vgpr16
                                        ; implicit-def: $vgpr8
                                        ; implicit-def: $vgpr34
                                        ; implicit-def: $vgpr38
                                        ; implicit-def: $vgpr42
	s_and_saveexec_b32 s2, vcc_lo
	s_cbranch_execz .LBB0_5
; %bb.4:
	v_lshl_add_u32 v0, v50, 3, v70
	ds_read2_b64 v[12:15], v0 offset1:11
	ds_read2_b64 v[40:43], v0 offset0:22 offset1:33
	ds_read2_b64 v[36:39], v0 offset0:44 offset1:55
	;; [unrolled: 1-line block ×7, first 2 shown]
	ds_read_b64 v[8:9], v0 offset:1408
.LBB0_5:
	s_or_b32 exec_lo, exec_lo, s2
	s_waitcnt lgkmcnt(0)
	v_sub_f32_e32 v44, v15, v9
	v_sub_f32_e32 v45, v14, v8
	v_add_f32_e32 v51, v8, v14
	v_sub_f32_e32 v46, v41, v19
	v_add_f32_e32 v55, v9, v15
	v_mul_f32_e32 v60, 0xbeb8f4ab, v44
	v_mul_f32_e32 v67, 0xbeb8f4ab, v45
	v_add_f32_e32 v56, v18, v40
	v_sub_f32_e32 v48, v40, v18
	v_mul_f32_e32 v63, 0xbf2c7751, v46
	v_fmamk_f32 v0, v51, 0x3f6eb680, v60
	v_sub_f32_e32 v47, v43, v17
	v_fma_f32 v1, 0x3f6eb680, v55, -v67
	v_add_f32_e32 v57, v19, v41
	v_mul_f32_e32 v77, 0xbf2c7751, v48
	v_add_f32_e32 v0, v0, v12
	v_fmamk_f32 v2, v56, 0x3f3d2fb0, v63
	v_sub_f32_e32 v123, v42, v16
	v_add_f32_e32 v58, v16, v42
	v_mul_f32_e32 v66, 0xbf65296c, v47
	v_sub_f32_e32 v49, v37, v23
	v_add_f32_e32 v1, v1, v13
	v_fma_f32 v3, 0x3f3d2fb0, v57, -v77
	v_add_f32_e32 v0, v2, v0
	v_add_f32_e32 v59, v17, v43
	v_mul_f32_e32 v76, 0xbf65296c, v123
	v_fmamk_f32 v2, v58, 0x3ee437d1, v66
	v_sub_f32_e32 v125, v36, v22
	v_add_f32_e32 v61, v22, v36
	v_mul_f32_e32 v75, 0xbf7ee86f, v49
	v_sub_f32_e32 v124, v39, v21
	v_add_f32_e32 v1, v3, v1
	v_fma_f32 v3, 0x3ee437d1, v59, -v76
	v_add_f32_e32 v62, v23, v37
	v_mul_f32_e32 v81, 0xbf7ee86f, v125
	v_add_f32_e32 v0, v2, v0
	v_fmamk_f32 v2, v61, 0x3dbcf732, v75
	v_sub_f32_e32 v127, v38, v20
	v_add_f32_e32 v64, v20, v38
	v_mul_f32_e32 v80, 0xbf763a35, v124
	v_sub_f32_e32 v126, v33, v27
	v_add_f32_e32 v1, v3, v1
	v_fma_f32 v3, 0x3dbcf732, v62, -v81
	v_add_f32_e32 v0, v2, v0
	v_add_f32_e32 v65, v21, v39
	v_mul_f32_e32 v85, 0xbf763a35, v127
	v_fmamk_f32 v2, v64, 0xbe8c1d8e, v80
	v_sub_f32_e32 v146, v32, v26
	v_add_f32_e32 v68, v26, v32
	v_mul_f32_e32 v84, 0xbf4c4adb, v126
	v_sub_f32_e32 v141, v35, v25
	v_add_f32_e32 v1, v3, v1
	v_fma_f32 v3, 0xbe8c1d8e, v65, -v85
	v_add_f32_e32 v74, v27, v33
	v_mul_f32_e32 v86, 0xbf4c4adb, v146
	v_add_f32_e32 v0, v2, v0
	v_fmamk_f32 v2, v68, 0xbf1a4643, v84
	v_sub_f32_e32 v153, v34, v24
	v_add_f32_e32 v78, v24, v34
	v_mul_f32_e32 v87, 0xbf06c442, v141
	v_sub_f32_e32 v155, v29, v31
	v_add_f32_e32 v1, v3, v1
	v_fma_f32 v3, 0xbf1a4643, v74, -v86
	v_add_f32_e32 v79, v25, v35
	v_mul_f32_e32 v89, 0xbf06c442, v153
	v_add_f32_e32 v0, v2, v0
	v_fmamk_f32 v2, v78, 0xbf59a7d5, v87
	v_add_f32_e32 v82, v30, v28
	v_mul_f32_e32 v88, 0xbe3c28d5, v155
	v_add_f32_e32 v1, v3, v1
	v_fma_f32 v3, 0xbf59a7d5, v79, -v89
	v_add_f32_e32 v0, v2, v0
	v_mul_f32_e32 v95, 0xbf2c7751, v44
	v_fmamk_f32 v2, v82, 0xbf7ba420, v88
	v_mul_f32_e32 v102, 0xbf2c7751, v45
	v_add_f32_e32 v1, v3, v1
	v_mul_f32_e32 v97, 0xbf7ee86f, v46
	v_mul_f32_e32 v103, 0xbf7ee86f, v48
	v_add_f32_e32 v53, v2, v0
	v_fmamk_f32 v0, v51, 0x3f3d2fb0, v95
	v_fma_f32 v3, 0x3f3d2fb0, v55, -v102
	v_fmamk_f32 v4, v56, 0x3dbcf732, v97
	v_mul_f32_e32 v98, 0xbf4c4adb, v47
	v_fma_f32 v5, 0x3dbcf732, v57, -v103
	v_add_f32_e32 v0, v0, v12
	v_add_f32_e32 v3, v3, v13
	v_mul_f32_e32 v99, 0xbf4c4adb, v123
	v_mul_f32_e32 v96, 0xbe3c28d5, v49
	v_mul_f32_e32 v100, 0xbe3c28d5, v125
	v_add_f32_e32 v0, v4, v0
	v_fmamk_f32 v4, v58, 0xbf1a4643, v98
	v_add_f32_e32 v3, v5, v3
	v_fma_f32 v5, 0xbf1a4643, v59, -v99
	v_sub_f32_e32 v159, v28, v30
	v_mul_f32_e32 v93, 0x3f06c442, v124
	v_add_f32_e32 v0, v4, v0
	v_fmamk_f32 v4, v61, 0xbf7ba420, v96
	v_add_f32_e32 v3, v5, v3
	v_fma_f32 v5, 0xbf7ba420, v62, -v100
	v_mul_f32_e32 v104, 0x3f06c442, v127
	v_add_f32_e32 v83, v31, v29
	v_mul_f32_e32 v90, 0xbe3c28d5, v159
	v_add_f32_e32 v0, v4, v0
	v_fmamk_f32 v4, v64, 0xbf59a7d5, v93
	v_mul_f32_e32 v91, 0x3f763a35, v126
	v_add_f32_e32 v3, v5, v3
	v_fma_f32 v5, 0xbf59a7d5, v65, -v104
	v_mul_f32_e32 v101, 0x3f763a35, v146
	v_fma_f32 v2, 0xbf7ba420, v83, -v90
	v_add_f32_e32 v0, v4, v0
	v_fmamk_f32 v4, v68, 0xbe8c1d8e, v91
	v_mul_f32_e32 v92, 0x3f65296c, v141
	v_add_f32_e32 v3, v5, v3
	v_fma_f32 v5, 0xbe8c1d8e, v74, -v101
	v_mul_f32_e32 v105, 0x3f65296c, v153
	v_add_f32_e32 v0, v4, v0
	v_fmamk_f32 v4, v78, 0x3ee437d1, v92
	v_add_f32_e32 v54, v2, v1
	v_add_f32_e32 v1, v5, v3
	v_fma_f32 v2, 0x3ee437d1, v79, -v105
	v_mul_f32_e32 v113, 0xbf65296c, v44
	v_mul_f32_e32 v94, 0x3eb8f4ab, v155
	v_add_f32_e32 v0, v4, v0
	v_mul_f32_e32 v112, 0xbf4c4adb, v46
	v_add_f32_e32 v1, v2, v1
	v_fmamk_f32 v2, v51, 0x3ee437d1, v113
	v_fmamk_f32 v3, v82, 0x3f6eb680, v94
	v_mul_f32_e32 v121, 0xbf65296c, v45
	v_fmamk_f32 v6, v56, 0xbf1a4643, v112
	v_mul_f32_e32 v114, 0x3e3c28d5, v47
	v_add_f32_e32 v5, v2, v12
	v_add_f32_e32 v2, v3, v0
	v_fma_f32 v0, 0x3ee437d1, v55, -v121
	v_mul_f32_e32 v122, 0xbf4c4adb, v48
	v_mul_f32_e32 v111, 0x3f763a35, v49
	v_add_f32_e32 v3, v6, v5
	v_fmamk_f32 v5, v58, 0xbf7ba420, v114
	v_add_f32_e32 v0, v0, v13
	v_fma_f32 v6, 0xbf1a4643, v57, -v122
	v_mul_f32_e32 v120, 0x3e3c28d5, v123
	v_mul_f32_e32 v109, 0x3f2c7751, v124
	v_add_f32_e32 v3, v5, v3
	v_fmamk_f32 v5, v61, 0xbe8c1d8e, v111
	;; [unrolled: 6-line block ×4, first 2 shown]
	v_mul_f32_e32 v107, 0xbf7ee86f, v141
	v_add_f32_e32 v0, v6, v0
	v_fma_f32 v6, 0x3f3d2fb0, v65, -v118
	v_mul_f32_e32 v117, 0xbeb8f4ab, v146
	v_fma_f32 v4, 0x3f6eb680, v83, -v106
	v_add_f32_e32 v3, v5, v3
	v_fmamk_f32 v5, v78, 0x3dbcf732, v107
	v_add_f32_e32 v0, v6, v0
	v_fma_f32 v6, 0x3f6eb680, v74, -v117
	v_mul_f32_e32 v115, 0xbf7ee86f, v153
	v_mul_f32_e32 v108, 0xbf06c442, v155
	v_add_f32_e32 v5, v5, v3
	v_add_f32_e32 v3, v4, v1
	;; [unrolled: 1-line block ×3, first 2 shown]
	v_fma_f32 v4, 0x3dbcf732, v79, -v115
	v_mul_f32_e32 v129, 0xbf7ee86f, v44
	v_fmamk_f32 v7, v82, 0xbf59a7d5, v108
	v_mul_f32_e32 v136, 0xbe3c28d5, v46
	v_mul_f32_e32 v148, 0xbf7ee86f, v45
	v_add_f32_e32 v1, v4, v1
	v_fmamk_f32 v4, v51, 0x3dbcf732, v129
	v_add_f32_e32 v0, v7, v5
	v_fmamk_f32 v7, v56, 0xbf7ba420, v136
	v_mul_f32_e32 v131, 0x3f763a35, v47
	v_fma_f32 v6, 0x3dbcf732, v55, -v148
	v_add_f32_e32 v4, v4, v12
	v_mul_f32_e32 v149, 0xbe3c28d5, v48
	v_mul_f32_e32 v132, 0x3eb8f4ab, v49
	v_mul_f32_e32 v116, 0xbf06c442, v159
	v_add_f32_e32 v6, v6, v13
	v_add_f32_e32 v4, v7, v4
	v_fmamk_f32 v7, v58, 0xbe8c1d8e, v131
	v_fma_f32 v10, 0xbf7ba420, v57, -v149
	v_mul_f32_e32 v143, 0x3f763a35, v123
	v_mul_f32_e32 v133, 0xbf65296c, v124
	v_fma_f32 v5, 0xbf59a7d5, v83, -v116
	v_add_f32_e32 v4, v7, v4
	v_fmamk_f32 v7, v61, 0x3f6eb680, v132
	v_add_f32_e32 v6, v10, v6
	v_fma_f32 v10, 0xbe8c1d8e, v59, -v143
	v_mul_f32_e32 v144, 0x3eb8f4ab, v125
	v_mul_f32_e32 v134, 0xbf06c442, v126
	v_add_f32_e32 v4, v7, v4
	v_fmamk_f32 v7, v64, 0x3ee437d1, v133
	v_add_f32_e32 v6, v10, v6
	v_fma_f32 v10, 0x3f6eb680, v62, -v144
	v_mul_f32_e32 v145, 0xbf65296c, v127
	v_add_f32_e32 v1, v5, v1
	v_add_f32_e32 v4, v7, v4
	v_fmamk_f32 v5, v68, 0xbf59a7d5, v134
	v_mul_f32_e32 v177, 0xbf763a35, v44
	v_add_f32_e32 v6, v10, v6
	v_fma_f32 v10, 0x3ee437d1, v65, -v145
	v_mul_f32_e32 v138, 0x3f4c4adb, v141
	v_add_f32_e32 v4, v5, v4
	v_fmamk_f32 v5, v51, 0xbe8c1d8e, v177
	v_mul_f32_e32 v178, 0x3f06c442, v46
	v_add_f32_e32 v6, v10, v6
	v_mul_f32_e32 v154, 0xbf06c442, v146
	v_fmamk_f32 v10, v78, 0xbf1a4643, v138
	v_add_f32_e32 v5, v5, v12
	v_fmamk_f32 v11, v56, 0xbf59a7d5, v178
	v_mul_f32_e32 v173, 0x3f2c7751, v47
	v_fma_f32 v7, 0xbf59a7d5, v74, -v154
	v_mul_f32_e32 v152, 0x3f4c4adb, v153
	v_add_f32_e32 v4, v10, v4
	v_add_f32_e32 v5, v11, v5
	v_fmamk_f32 v10, v58, 0x3f3d2fb0, v173
	v_mul_f32_e32 v183, 0xbf763a35, v45
	v_add_f32_e32 v6, v7, v6
	v_fma_f32 v7, 0xbf1a4643, v79, -v152
	v_mul_f32_e32 v171, 0xbf65296c, v49
	v_add_f32_e32 v5, v10, v5
	v_fma_f32 v10, 0xbe8c1d8e, v55, -v183
	v_mul_f32_e32 v184, 0x3f06c442, v48
	v_add_f32_e32 v7, v7, v6
	v_fmamk_f32 v6, v61, 0x3ee437d1, v171
	v_mul_f32_e32 v175, 0xbe3c28d5, v124
	v_add_f32_e32 v10, v10, v13
	v_fma_f32 v11, 0xbf59a7d5, v57, -v184
	v_mul_f32_e32 v181, 0x3f2c7751, v123
	v_mul_f32_e32 v142, 0x3f2c7751, v155
	v_add_f32_e32 v5, v6, v5
	v_fmamk_f32 v6, v64, 0xbf7ba420, v175
	v_mul_f32_e32 v174, 0x3f7ee86f, v126
	v_add_f32_e32 v10, v11, v10
	v_fma_f32 v11, 0x3f3d2fb0, v59, -v181
	v_mul_f32_e32 v180, 0xbf65296c, v125
	v_fmamk_f32 v73, v82, 0x3f3d2fb0, v142
	v_add_f32_e32 v5, v6, v5
	v_fmamk_f32 v6, v68, 0x3dbcf732, v174
	v_add_f32_e32 v10, v11, v10
	v_fma_f32 v11, 0x3ee437d1, v62, -v180
	v_mul_f32_e32 v179, 0xbe3c28d5, v127
	v_mul_f32_e32 v176, 0xbeb8f4ab, v141
	v_add_f32_e32 v5, v6, v5
	v_add_f32_e32 v6, v73, v4
	;; [unrolled: 1-line block ×3, first 2 shown]
	v_fma_f32 v10, 0xbf7ba420, v65, -v179
	v_mul_f32_e32 v188, 0xbf4c4adb, v44
	v_mul_f32_e32 v192, 0xbf4c4adb, v45
	v_fmamk_f32 v130, v78, 0x3f6eb680, v176
	v_mul_f32_e32 v182, 0x3f7ee86f, v146
	v_add_f32_e32 v4, v10, v4
	v_fmamk_f32 v10, v51, 0xbf1a4643, v188
	v_mul_f32_e32 v189, 0x3f763a35, v46
	v_fma_f32 v73, 0xbf1a4643, v55, -v192
	v_mul_f32_e32 v194, 0x3f763a35, v48
	v_add_f32_e32 v5, v130, v5
	v_fma_f32 v130, 0x3dbcf732, v74, -v182
	v_add_f32_e32 v10, v10, v12
	v_fmamk_f32 v135, v56, 0xbe8c1d8e, v189
	v_add_f32_e32 v73, v73, v13
	v_fma_f32 v137, 0xbe8c1d8e, v57, -v194
	v_mul_f32_e32 v190, 0xbeb8f4ab, v47
	v_mul_f32_e32 v198, 0xbeb8f4ab, v123
	v_add_f32_e32 v4, v130, v4
	v_add_f32_e32 v10, v135, v10
	;; [unrolled: 1-line block ×3, first 2 shown]
	v_fmamk_f32 v130, v58, 0x3f6eb680, v190
	v_fma_f32 v135, 0x3f6eb680, v59, -v198
	v_mul_f32_e32 v191, 0xbf06c442, v49
	v_mul_f32_e32 v199, 0xbf06c442, v125
	;; [unrolled: 1-line block ×3, first 2 shown]
	v_add_f32_e32 v10, v130, v10
	v_add_f32_e32 v73, v135, v73
	v_fmamk_f32 v130, v61, 0xbf59a7d5, v191
	v_fma_f32 v135, 0xbf59a7d5, v62, -v199
	v_mul_f32_e32 v193, 0x3f7ee86f, v124
	v_mul_f32_e32 v200, 0x3f7ee86f, v127
	v_fma_f32 v137, 0x3f6eb680, v79, -v185
	v_add_f32_e32 v10, v130, v10
	v_add_f32_e32 v73, v135, v73
	v_fmamk_f32 v130, v64, 0x3dbcf732, v193
	v_fma_f32 v135, 0x3dbcf732, v65, -v200
	v_mul_f32_e32 v195, 0xbf2c7751, v126
	v_mul_f32_e32 v201, 0xbf2c7751, v146
	v_add_f32_e32 v137, v137, v4
	v_add_f32_e32 v4, v130, v10
	;; [unrolled: 1-line block ×3, first 2 shown]
	v_fmamk_f32 v73, v68, 0x3f3d2fb0, v195
	v_fma_f32 v130, 0x3f3d2fb0, v74, -v201
	v_mul_f32_e32 v196, 0xbe3c28d5, v141
	v_mul_f32_e32 v202, 0xbe3c28d5, v153
	;; [unrolled: 1-line block ×5, first 2 shown]
	v_add_f32_e32 v4, v73, v4
	v_add_f32_e32 v10, v130, v10
	v_fmamk_f32 v73, v78, 0xbf7ba420, v196
	v_fma_f32 v130, 0xbf7ba420, v79, -v202
	v_mul_f32_e32 v187, 0x3f65296c, v155
	v_mul_f32_e32 v197, 0x3f65296c, v159
	v_fma_f32 v128, 0x3f3d2fb0, v83, -v157
	v_fmamk_f32 v11, v82, 0xbf1a4643, v172
	v_fma_f32 v135, 0xbf1a4643, v83, -v186
	v_add_f32_e32 v73, v73, v4
	v_add_f32_e32 v130, v130, v10
	v_fmamk_f32 v10, v82, 0x3ee437d1, v187
	v_fma_f32 v139, 0x3ee437d1, v83, -v197
	v_add_f32_e32 v7, v128, v7
	v_add_f32_e32 v4, v11, v5
	;; [unrolled: 1-line block ×5, first 2 shown]
	v_mul_lo_u16 v73, v71, 17
	s_barrier
	buffer_gl0_inv
	s_and_saveexec_b32 s2, vcc_lo
	s_cbranch_execz .LBB0_7
; %bb.6:
	v_mul_f32_e32 v150, 0xbe3c28d5, v45
	v_mul_f32_e32 v147, 0xbe3c28d5, v44
	;; [unrolled: 1-line block ×5, first 2 shown]
	v_fmamk_f32 v135, v55, 0xbf7ba420, v150
	v_fma_f32 v137, 0xbf7ba420, v51, -v147
	v_mul_f32_e32 v130, 0xbf06c442, v47
	v_fmamk_f32 v139, v57, 0x3f6eb680, v156
	v_fma_f32 v151, 0x3f6eb680, v56, -v128
	v_add_f32_e32 v140, v135, v13
	v_add_f32_e32 v137, v137, v12
	v_mul_f32_e32 v161, 0x3f2c7751, v125
	v_mul_f32_e32 v135, 0x3f2c7751, v49
	v_fmamk_f32 v158, v59, 0xbf59a7d5, v160
	v_add_f32_e32 v139, v139, v140
	v_fma_f32 v140, 0xbf59a7d5, v58, -v130
	v_add_f32_e32 v151, v151, v137
	v_mul_f32_e32 v163, 0xbf4c4adb, v127
	v_fmamk_f32 v162, v62, 0x3f3d2fb0, v161
	v_add_f32_e32 v139, v158, v139
	v_mul_f32_e32 v137, 0xbf4c4adb, v124
	v_fma_f32 v158, 0x3f3d2fb0, v61, -v135
	v_add_f32_e32 v140, v140, v151
	v_fmamk_f32 v151, v65, 0xbf1a4643, v163
	v_add_f32_e32 v162, v162, v139
	v_mul_f32_e32 v166, 0x3f65296c, v146
	v_fma_f32 v165, 0xbf1a4643, v64, -v137
	v_add_f32_e32 v140, v158, v140
	v_mul_f32_e32 v139, 0x3f65296c, v126
	v_add_f32_e32 v151, v151, v162
	v_fmamk_f32 v158, v74, 0x3ee437d1, v166
	v_mul_f32_e32 v164, 0xbf763a35, v153
	v_add_f32_e32 v165, v165, v140
	v_fma_f32 v167, 0x3ee437d1, v68, -v139
	v_mul_f32_e32 v140, 0xbf763a35, v141
	v_add_f32_e32 v151, v158, v151
	v_fmamk_f32 v158, v79, 0xbe8c1d8e, v164
	v_mul_f32_e32 v162, 0xbf06c442, v45
	v_add_f32_e32 v45, v167, v165
	v_fma_f32 v165, 0xbe8c1d8e, v78, -v140
	v_mul_f32_e32 v123, 0xbf7ee86f, v123
	v_add_f32_e32 v170, v158, v151
	v_fmamk_f32 v167, v55, 0xbf59a7d5, v162
	v_mul_f32_e32 v158, 0x3f65296c, v48
	v_add_f32_e32 v48, v165, v45
	v_mul_f32_e32 v165, 0xbf06c442, v44
	v_mul_f32_e32 v125, 0x3f4c4adb, v125
	v_add_f32_e32 v44, v167, v13
	v_fmamk_f32 v45, v57, 0x3ee437d1, v158
	v_mul_f32_e32 v167, 0x3f65296c, v46
	v_fma_f32 v168, 0xbf59a7d5, v51, -v165
	v_mul_f32_e32 v151, 0x3f7ee86f, v159
	v_mul_f32_e32 v127, 0xbeb8f4ab, v127
	v_add_f32_e32 v44, v45, v44
	v_fmamk_f32 v45, v59, 0x3dbcf732, v123
	v_add_f32_e32 v46, v168, v12
	v_fma_f32 v169, 0x3ee437d1, v56, -v167
	v_mul_f32_e32 v168, 0xbf7ee86f, v47
	v_fmamk_f32 v203, v83, 0x3dbcf732, v151
	v_add_f32_e32 v44, v45, v44
	v_fmamk_f32 v45, v62, 0xbf1a4643, v125
	v_add_f32_e32 v46, v169, v46
	v_fma_f32 v47, 0x3dbcf732, v58, -v168
	v_mul_f32_e32 v169, 0x3f4c4adb, v49
	v_fmamk_f32 v49, v65, 0x3f6eb680, v127
	v_add_f32_e32 v44, v45, v44
	v_mul_f32_e32 v146, 0xbe3c28d5, v146
	v_add_f32_e32 v46, v47, v46
	v_fma_f32 v47, 0xbf1a4643, v61, -v169
	v_mul_f32_e32 v124, 0xbeb8f4ab, v124
	v_add_f32_e32 v45, v203, v170
	v_add_f32_e32 v44, v49, v44
	v_fmamk_f32 v49, v74, 0xbf7ba420, v146
	v_add_f32_e32 v46, v47, v46
	v_fma_f32 v47, 0x3f6eb680, v64, -v124
	v_mul_f32_e32 v170, 0xbe3c28d5, v126
	v_mul_f32_e32 v153, 0x3f2c7751, v153
	;; [unrolled: 1-line block ×3, first 2 shown]
	v_add_f32_e32 v44, v49, v44
	v_add_f32_e32 v46, v47, v46
	v_fma_f32 v47, 0xbf7ba420, v68, -v170
	v_mul_f32_e32 v141, 0x3f2c7751, v141
	v_fmamk_f32 v49, v79, 0x3f3d2fb0, v153
	v_mul_f32_e32 v159, 0xbf763a35, v159
	v_fma_f32 v203, 0x3dbcf732, v82, -v126
	v_add_f32_e32 v46, v47, v46
	v_fma_f32 v47, 0x3f3d2fb0, v78, -v141
	v_add_f32_e32 v49, v49, v44
	v_fmamk_f32 v204, v83, 0xbe8c1d8e, v159
	v_add_f32_e32 v44, v203, v48
	v_mul_f32_e32 v48, 0xbf1a4643, v55
	v_add_f32_e32 v46, v47, v46
	v_add_f32_e32 v14, v14, v12
	;; [unrolled: 1-line block ×3, first 2 shown]
	v_mul_f32_e32 v49, 0xbf1a4643, v51
	v_mul_f32_e32 v204, 0xbe8c1d8e, v57
	v_add_f32_e32 v48, v192, v48
	v_mul_f32_e32 v192, 0xbe8c1d8e, v56
	v_add_f32_e32 v14, v40, v14
	v_sub_f32_e32 v49, v49, v188
	v_add_f32_e32 v188, v194, v204
	v_add_f32_e32 v48, v48, v13
	v_mul_f32_e32 v194, 0x3f6eb680, v59
	v_sub_f32_e32 v189, v192, v189
	v_add_f32_e32 v49, v49, v12
	v_mul_f32_e32 v192, 0x3f6eb680, v58
	v_add_f32_e32 v48, v188, v48
	v_add_f32_e32 v188, v198, v194
	v_mul_f32_e32 v194, 0xbf59a7d5, v62
	v_add_f32_e32 v49, v189, v49
	v_sub_f32_e32 v189, v192, v190
	v_mul_f32_e32 v190, 0xbf59a7d5, v61
	v_add_f32_e32 v48, v188, v48
	v_add_f32_e32 v188, v199, v194
	v_mul_f32_e32 v192, 0x3dbcf732, v65
	v_add_f32_e32 v49, v189, v49
	v_sub_f32_e32 v189, v190, v191
	;; [unrolled: 6-line block ×5, first 2 shown]
	v_mul_f32_e32 v190, 0xbe8c1d8e, v55
	v_add_f32_e32 v48, v188, v48
	v_add_f32_e32 v188, v197, v191
	v_mul_f32_e32 v191, 0xbf59a7d5, v57
	v_add_f32_e32 v189, v189, v49
	v_add_f32_e32 v49, v183, v190
	v_mul_f32_e32 v183, 0xbe8c1d8e, v51
	v_mul_f32_e32 v190, 0x3ee437d1, v82
	v_add_f32_e32 v184, v184, v191
	v_mul_f32_e32 v191, 0xbf59a7d5, v56
	v_add_f32_e32 v49, v49, v13
	v_sub_f32_e32 v177, v183, v177
	v_sub_f32_e32 v183, v190, v187
	v_mul_f32_e32 v187, 0x3f3d2fb0, v59
	v_sub_f32_e32 v178, v191, v178
	v_add_f32_e32 v184, v184, v49
	v_add_f32_e32 v177, v177, v12
	v_mul_f32_e32 v190, 0x3f3d2fb0, v58
	v_add_f32_e32 v181, v181, v187
	v_add_f32_e32 v49, v188, v48
	v_mul_f32_e32 v48, 0x3ee437d1, v62
	v_add_f32_e32 v177, v178, v177
	v_sub_f32_e32 v173, v190, v173
	v_add_f32_e32 v178, v181, v184
	v_mul_f32_e32 v181, 0x3ee437d1, v61
	v_add_f32_e32 v180, v180, v48
	v_add_f32_e32 v48, v183, v189
	v_mul_f32_e32 v183, 0xbf7ba420, v65
	v_add_f32_e32 v173, v173, v177
	v_sub_f32_e32 v171, v181, v171
	v_add_f32_e32 v177, v180, v178
	v_mul_f32_e32 v178, 0xbf7ba420, v64
	v_add_f32_e32 v179, v179, v183
	v_mul_f32_e32 v183, 0xbf1a4643, v82
	;; [unrolled: 2-line block ×3, first 2 shown]
	v_sub_f32_e32 v175, v178, v175
	v_add_f32_e32 v177, v179, v177
	v_mul_f32_e32 v179, 0x3dbcf732, v68
	v_sub_f32_e32 v172, v183, v172
	v_add_f32_e32 v173, v182, v173
	v_add_f32_e32 v171, v175, v171
	v_mul_f32_e32 v175, 0x3f6eb680, v79
	v_sub_f32_e32 v174, v179, v174
	v_mul_f32_e32 v181, 0x3f3d2fb0, v51
	v_add_f32_e32 v173, v173, v177
	v_mul_f32_e32 v177, 0x3f6eb680, v78
	v_add_f32_e32 v175, v185, v175
	v_add_f32_e32 v171, v174, v171
	v_mul_f32_e32 v174, 0xbf1a4643, v83
	v_sub_f32_e32 v95, v181, v95
	v_sub_f32_e32 v176, v177, v176
	v_add_f32_e32 v173, v175, v173
	v_mul_f32_e32 v175, 0x3dbcf732, v55
	v_add_f32_e32 v174, v186, v174
	v_add_f32_e32 v95, v95, v12
	;; [unrolled: 1-line block ×3, first 2 shown]
	v_mul_f32_e32 v176, 0xbf7ba420, v57
	v_add_f32_e32 v148, v148, v175
	v_mul_f32_e32 v175, 0x3dbcf732, v51
	v_add_f32_e32 v14, v42, v14
	;; [unrolled: 2-line block ×3, first 2 shown]
	v_add_f32_e32 v185, v148, v13
	v_add_f32_e32 v148, v172, v171
	v_mul_f32_e32 v172, 0xbe8c1d8e, v59
	v_add_f32_e32 v149, v174, v173
	v_mul_f32_e32 v171, 0x3dbcf732, v56
	;; [unrolled: 2-line block ×4, first 2 shown]
	v_sub_f32_e32 v97, v171, v97
	v_sub_f32_e32 v129, v175, v129
	;; [unrolled: 1-line block ×3, first 2 shown]
	v_add_f32_e32 v143, v143, v173
	v_add_f32_e32 v144, v144, v172
	;; [unrolled: 1-line block ×4, first 2 shown]
	v_mul_f32_e32 v173, 0xbe8c1d8e, v58
	v_add_f32_e32 v14, v36, v14
	v_add_f32_e32 v143, v144, v143
	v_mul_f32_e32 v144, 0x3f6eb680, v61
	v_add_f32_e32 v129, v136, v129
	v_mul_f32_e32 v136, 0x3ee437d1, v65
	v_sub_f32_e32 v131, v173, v131
	v_mul_f32_e32 v172, 0xbf1a4643, v57
	v_sub_f32_e32 v132, v144, v132
	v_mul_f32_e32 v144, 0xbf1a4643, v58
	v_add_f32_e32 v136, v145, v136
	v_add_f32_e32 v129, v131, v129
	v_mul_f32_e32 v131, 0xbf59a7d5, v74
	v_add_f32_e32 v121, v121, v177
	v_sub_f32_e32 v97, v144, v98
	v_add_f32_e32 v136, v136, v143
	v_mul_f32_e32 v143, 0x3ee437d1, v64
	v_add_f32_e32 v131, v154, v131
	v_add_f32_e32 v129, v132, v129
	;; [unrolled: 1-line block ×4, first 2 shown]
	v_sub_f32_e32 v133, v143, v133
	v_add_f32_e32 v131, v131, v136
	v_mul_f32_e32 v136, 0xbf59a7d5, v68
	v_mul_f32_e32 v132, 0xbf1a4643, v79
	v_add_f32_e32 v41, v41, v97
	v_add_f32_e32 v129, v133, v129
	v_mul_f32_e32 v133, 0x3f3d2fb0, v83
	v_sub_f32_e32 v134, v136, v134
	v_add_f32_e32 v132, v152, v132
	v_add_f32_e32 v41, v43, v41
	v_mul_f32_e32 v152, 0xbf7ba420, v59
	v_add_f32_e32 v133, v157, v133
	v_mul_f32_e32 v157, 0xbf1a4643, v78
	v_add_f32_e32 v129, v134, v129
	v_add_f32_e32 v37, v37, v41
	;; [unrolled: 1-line block ×4, first 2 shown]
	v_sub_f32_e32 v138, v157, v138
	v_mul_f32_e32 v178, 0x3f6eb680, v55
	v_add_f32_e32 v37, v39, v37
	v_mul_f32_e32 v134, 0xbf7ba420, v61
	v_add_f32_e32 v122, v122, v121
	v_add_f32_e32 v129, v138, v129
	v_mul_f32_e32 v138, 0xbe8c1d8e, v62
	v_add_f32_e32 v33, v33, v37
	v_add_f32_e32 v37, v38, v14
	;; [unrolled: 1-line block ×3, first 2 shown]
	v_mul_f32_e32 v184, 0x3f3d2fb0, v57
	v_mul_f32_e32 v185, 0xbf59a7d5, v64
	v_add_f32_e32 v33, v35, v33
	v_add_f32_e32 v32, v32, v37
	;; [unrolled: 1-line block ×7, first 2 shown]
	v_sub_f32_e32 v96, v134, v96
	v_mul_f32_e32 v145, 0x3ee437d1, v59
	v_mul_f32_e32 v143, 0xbf7ba420, v58
	v_add_f32_e32 v29, v31, v29
	v_add_f32_e32 v31, v28, v32
	;; [unrolled: 1-line block ×3, first 2 shown]
	v_mul_f32_e32 v122, 0xbe8c1d8e, v68
	v_add_f32_e32 v67, v67, v13
	v_add_f32_e32 v25, v25, v29
	;; [unrolled: 1-line block ×3, first 2 shown]
	v_fma_f32 v30, 0xbf7ba420, v55, -v150
	v_add_f32_e32 v77, v77, v184
	v_add_f32_e32 v95, v96, v95
	v_sub_f32_e32 v93, v185, v93
	v_add_f32_e32 v24, v24, v29
	v_add_f32_e32 v25, v27, v25
	;; [unrolled: 1-line block ×3, first 2 shown]
	v_fma_f32 v29, 0x3f6eb680, v57, -v156
	v_mul_f32_e32 v154, 0xbf1a4643, v59
	v_add_f32_e32 v24, v26, v24
	v_sub_f32_e32 v114, v143, v114
	v_mul_f32_e32 v143, 0x3ee437d1, v78
	v_add_f32_e32 v67, v77, v67
	v_add_f32_e32 v76, v76, v145
	;; [unrolled: 1-line block ×3, first 2 shown]
	v_sub_f32_e32 v91, v122, v91
	v_add_f32_e32 v20, v20, v24
	v_add_f32_e32 v21, v21, v25
	;; [unrolled: 1-line block ×3, first 2 shown]
	v_fma_f32 v26, 0xbf59a7d5, v59, -v160
	v_add_f32_e32 v99, v99, v154
	v_mul_f32_e32 v154, 0x3f6eb680, v82
	v_add_f32_e32 v40, v76, v67
	v_add_f32_e32 v67, v91, v77
	v_sub_f32_e32 v41, v143, v92
	v_add_f32_e32 v20, v22, v20
	v_add_f32_e32 v21, v23, v21
	;; [unrolled: 1-line block ×3, first 2 shown]
	v_fma_f32 v24, 0x3f3d2fb0, v62, -v161
	v_mul_f32_e32 v180, 0x3f6eb680, v51
	v_add_f32_e32 v36, v41, v67
	v_sub_f32_e32 v39, v154, v94
	v_add_f32_e32 v16, v16, v20
	v_mul_f32_e32 v179, 0x3f3d2fb0, v55
	v_mul_f32_e32 v182, 0x3ee437d1, v51
	v_add_f32_e32 v131, v132, v131
	v_add_f32_e32 v17, v17, v21
	;; [unrolled: 1-line block ×3, first 2 shown]
	v_fma_f32 v22, 0xbf1a4643, v65, -v163
	v_mul_f32_e32 v183, 0x3f3d2fb0, v56
	v_add_f32_e32 v14, v39, v36
	v_sub_f32_e32 v36, v180, v60
	v_add_f32_e32 v16, v18, v16
	v_mul_f32_e32 v175, 0x3dbcf732, v57
	v_mul_f32_e32 v174, 0xbf1a4643, v56
	v_add_f32_e32 v121, v133, v131
	v_mul_f32_e32 v133, 0x3f3d2fb0, v65
	v_sub_f32_e32 v113, v182, v113
	v_add_f32_e32 v102, v102, v179
	v_add_f32_e32 v17, v19, v17
	;; [unrolled: 1-line block ×3, first 2 shown]
	v_fma_f32 v20, 0x3ee437d1, v74, -v166
	v_fmac_f32_e32 v147, 0xbf7ba420, v51
	v_mul_f32_e32 v173, 0x3ee437d1, v58
	v_add_f32_e32 v36, v36, v12
	v_sub_f32_e32 v33, v183, v63
	v_add_f32_e32 v8, v8, v16
	v_fma_f32 v16, 0xbf59a7d5, v55, -v162
	v_fmac_f32_e32 v165, 0xbf59a7d5, v51
	v_mul_f32_e32 v157, 0x3f3d2fb0, v82
	v_add_f32_e32 v118, v118, v133
	v_add_f32_e32 v113, v113, v12
	v_sub_f32_e32 v112, v174, v112
	v_add_f32_e32 v103, v103, v175
	v_add_f32_e32 v102, v102, v13
	;; [unrolled: 1-line block ×4, first 2 shown]
	v_fma_f32 v18, 0xbe8c1d8e, v79, -v164
	v_add_f32_e32 v19, v147, v12
	v_fmac_f32_e32 v128, 0x3f6eb680, v56
	v_mul_f32_e32 v136, 0x3dbcf732, v61
	v_mul_f32_e32 v132, 0x3dbcf732, v62
	v_add_f32_e32 v32, v33, v36
	v_sub_f32_e32 v33, v173, v66
	v_add_f32_e32 v13, v16, v13
	v_fma_f32 v16, 0x3ee437d1, v57, -v158
	v_add_f32_e32 v12, v165, v12
	v_fmac_f32_e32 v167, 0x3ee437d1, v56
	v_mul_f32_e32 v176, 0xbf7ba420, v62
	v_mul_f32_e32 v172, 0xbe8c1d8e, v61
	v_sub_f32_e32 v142, v157, v142
	v_add_f32_e32 v118, v118, v119
	v_mul_f32_e32 v119, 0x3f6eb680, v74
	v_add_f32_e32 v112, v112, v113
	v_add_f32_e32 v102, v103, v102
	;; [unrolled: 1-line block ×4, first 2 shown]
	v_fmac_f32_e32 v130, 0xbf59a7d5, v58
	v_mul_f32_e32 v157, 0xbe8c1d8e, v64
	v_mul_f32_e32 v177, 0xbe8c1d8e, v65
	v_add_f32_e32 v43, v81, v132
	v_add_f32_e32 v31, v33, v32
	v_sub_f32_e32 v32, v136, v75
	v_add_f32_e32 v13, v16, v13
	v_fma_f32 v16, 0x3dbcf732, v59, -v123
	v_add_f32_e32 v12, v167, v12
	v_fmac_f32_e32 v168, 0x3dbcf732, v58
	v_add_f32_e32 v120, v142, v129
	v_mul_f32_e32 v129, 0xbf59a7d5, v65
	v_mul_f32_e32 v131, 0x3f3d2fb0, v64
	v_add_f32_e32 v117, v117, v119
	v_add_f32_e32 v112, v114, v112
	v_mul_f32_e32 v114, 0x3dbcf732, v79
	v_sub_f32_e32 v111, v172, v111
	v_add_f32_e32 v99, v99, v102
	v_add_f32_e32 v100, v100, v176
	v_add_f32_e32 v18, v130, v18
	v_fmac_f32_e32 v135, 0x3f3d2fb0, v61
	v_mul_f32_e32 v138, 0xbf1a4643, v68
	v_mul_f32_e32 v142, 0xbf1a4643, v74
	v_add_f32_e32 v40, v43, v40
	v_add_f32_e32 v42, v85, v177
	;; [unrolled: 1-line block ×3, first 2 shown]
	v_sub_f32_e32 v31, v157, v80
	v_add_f32_e32 v13, v16, v13
	v_fma_f32 v16, 0xbf1a4643, v62, -v125
	v_add_f32_e32 v12, v168, v12
	v_fmac_f32_e32 v169, 0xbf1a4643, v61
	v_mul_f32_e32 v133, 0xbe8c1d8e, v74
	v_mul_f32_e32 v152, 0x3f6eb680, v68
	v_add_f32_e32 v117, v117, v118
	v_add_f32_e32 v114, v115, v114
	;; [unrolled: 1-line block ×3, first 2 shown]
	v_mul_f32_e32 v112, 0xbf59a7d5, v83
	v_sub_f32_e32 v109, v131, v109
	v_add_f32_e32 v100, v100, v99
	v_add_f32_e32 v104, v104, v129
	;; [unrolled: 1-line block ×3, first 2 shown]
	v_fmac_f32_e32 v137, 0xbf1a4643, v64
	v_mul_f32_e32 v113, 0xbf59a7d5, v78
	v_mul_f32_e32 v174, 0xbf59a7d5, v79
	v_add_f32_e32 v40, v42, v40
	v_add_f32_e32 v38, v86, v142
	;; [unrolled: 1-line block ×3, first 2 shown]
	v_sub_f32_e32 v29, v138, v84
	v_add_f32_e32 v13, v16, v13
	v_fma_f32 v16, 0x3f6eb680, v65, -v127
	v_add_f32_e32 v12, v169, v12
	v_fmac_f32_e32 v124, 0x3f6eb680, v64
	v_mul_f32_e32 v175, 0x3ee437d1, v79
	v_mul_f32_e32 v119, 0x3dbcf732, v78
	v_add_f32_e32 v102, v114, v117
	v_add_f32_e32 v112, v116, v112
	v_add_f32_e32 v109, v109, v111
	v_sub_f32_e32 v110, v152, v110
	v_add_f32_e32 v100, v104, v100
	v_add_f32_e32 v101, v101, v133
	;; [unrolled: 1-line block ×3, first 2 shown]
	v_fmac_f32_e32 v139, 0x3ee437d1, v68
	v_mul_f32_e32 v172, 0xbf7ba420, v82
	v_mul_f32_e32 v103, 0xbf7ba420, v83
	v_add_f32_e32 v35, v38, v40
	v_add_f32_e32 v37, v89, v174
	;; [unrolled: 1-line block ×3, first 2 shown]
	v_sub_f32_e32 v26, v113, v87
	v_add_f32_e32 v13, v16, v13
	v_fma_f32 v16, 0xbf7ba420, v74, -v146
	v_add_f32_e32 v12, v124, v12
	v_fmac_f32_e32 v170, 0xbf7ba420, v68
	v_mul_f32_e32 v118, 0x3f6eb680, v83
	v_mul_f32_e32 v115, 0xbf59a7d5, v82
	v_add_f32_e32 v99, v112, v102
	v_add_f32_e32 v102, v110, v109
	v_sub_f32_e32 v107, v119, v107
	v_add_f32_e32 v100, v101, v100
	v_add_f32_e32 v101, v105, v175
	v_mul_f32_e32 v155, 0xbf763a35, v155
	v_add_f32_e32 v18, v139, v18
	v_fmac_f32_e32 v140, 0xbe8c1d8e, v78
	v_add_f32_e32 v34, v37, v35
	v_add_f32_e32 v35, v90, v103
	;; [unrolled: 1-line block ×3, first 2 shown]
	v_sub_f32_e32 v24, v172, v88
	v_add_f32_e32 v13, v16, v13
	v_fma_f32 v16, 0x3f3d2fb0, v79, -v153
	v_add_f32_e32 v12, v170, v12
	v_fmac_f32_e32 v141, 0x3f3d2fb0, v78
	v_and_b32_e32 v20, 0xffff, v73
	v_add_f32_e32 v102, v107, v102
	v_sub_f32_e32 v104, v115, v108
	v_add_f32_e32 v100, v101, v100
	v_add_f32_e32 v101, v106, v118
	v_fma_f32 v203, 0xbe8c1d8e, v82, -v155
	v_fma_f32 v19, 0x3dbcf732, v83, -v151
	v_add_f32_e32 v18, v140, v18
	v_fmac_f32_e32 v126, 0x3dbcf732, v82
	v_add_f32_e32 v28, v35, v34
	v_add_f32_e32 v27, v24, v23
	;; [unrolled: 1-line block ×3, first 2 shown]
	v_fma_f32 v21, 0xbe8c1d8e, v83, -v159
	v_add_f32_e32 v22, v141, v12
	v_fmac_f32_e32 v155, 0xbe8c1d8e, v82
	v_add_lshl_u32 v20, v50, v20, 3
	v_add_f32_e32 v98, v104, v102
	v_add_f32_e32 v15, v101, v100
	;; [unrolled: 1-line block ×7, first 2 shown]
	ds_write2_b64 v20, v[8:9], v[27:28] offset1:1
	ds_write2_b64 v20, v[14:15], v[98:99] offset0:2 offset1:3
	ds_write2_b64 v20, v[120:121], v[148:149] offset0:4 offset1:5
	;; [unrolled: 1-line block ×7, first 2 shown]
	ds_write_b64 v20, v[53:54] offset:128
.LBB0_7:
	s_or_b32 exec_lo, exec_lo, s2
	v_mul_u32_u24_e32 v8, 10, v71
	s_load_dwordx4 s[0:3], s[0:1], 0x0
	s_waitcnt lgkmcnt(0)
	s_barrier
	buffer_gl0_inv
	v_lshlrev_b32_e32 v8, 3, v8
	v_add_lshl_u32 v75, v50, v71, 3
	v_lshl_add_u32 v74, v71, 3, v72
	s_clause 0x4
	global_load_dwordx4 v[28:31], v8, s[4:5]
	global_load_dwordx4 v[20:23], v8, s[4:5] offset:16
	global_load_dwordx4 v[16:19], v8, s[4:5] offset:32
	;; [unrolled: 1-line block ×4, first 2 shown]
	ds_read2_b64 v[32:35], v75 offset1:17
	ds_read2_b64 v[36:39], v75 offset0:34 offset1:51
	ds_read2_b64 v[40:43], v75 offset0:68 offset1:85
	;; [unrolled: 1-line block ×4, first 2 shown]
	ds_read_b64 v[8:9], v75 offset:1360
	s_waitcnt vmcnt(4) lgkmcnt(5)
	v_mul_f32_e32 v55, v35, v29
	v_mul_f32_e32 v56, v34, v29
	s_waitcnt lgkmcnt(4)
	v_mul_f32_e32 v57, v37, v31
	v_mul_f32_e32 v58, v36, v31
	s_waitcnt vmcnt(0) lgkmcnt(0)
	v_mul_f32_e32 v80, v9, v27
	v_mul_f32_e32 v81, v8, v27
	v_fma_f32 v34, v34, v28, -v55
	v_fmac_f32_e32 v56, v35, v28
	v_mul_f32_e32 v59, v39, v21
	v_mul_f32_e32 v60, v38, v21
	;; [unrolled: 1-line block ×14, first 2 shown]
	v_fma_f32 v35, v36, v30, -v57
	v_fmac_f32_e32 v58, v37, v30
	v_fma_f32 v55, v8, v26, -v80
	v_fmac_f32_e32 v81, v9, v26
	v_add_f32_e32 v8, v32, v34
	v_add_f32_e32 v9, v33, v56
	v_fma_f32 v36, v38, v20, -v59
	v_fmac_f32_e32 v60, v39, v20
	v_fma_f32 v37, v40, v22, -v61
	v_fmac_f32_e32 v62, v41, v22
	;; [unrolled: 2-line block ×7, first 2 shown]
	v_add_f32_e32 v42, v34, v55
	v_sub_f32_e32 v34, v34, v55
	v_sub_f32_e32 v45, v56, v81
	v_add_f32_e32 v8, v8, v35
	v_add_f32_e32 v9, v9, v58
	;; [unrolled: 1-line block ×5, first 2 shown]
	v_sub_f32_e32 v48, v35, v44
	v_sub_f32_e32 v49, v58, v79
	;; [unrolled: 1-line block ×8, first 2 shown]
	v_mul_f32_e32 v35, 0xbf0a6770, v45
	v_mul_f32_e32 v58, 0xbf0a6770, v34
	;; [unrolled: 1-line block ×10, first 2 shown]
	v_add_f32_e32 v8, v8, v36
	v_add_f32_e32 v9, v9, v60
	;; [unrolled: 1-line block ×8, first 2 shown]
	v_mul_f32_e32 v88, 0xbf68dda4, v49
	v_mul_f32_e32 v89, 0xbf68dda4, v48
	;; [unrolled: 1-line block ×40, first 2 shown]
	v_fma_f32 v36, 0x3f575c64, v42, -v35
	v_fmamk_f32 v60, v43, 0x3f575c64, v58
	v_fma_f32 v58, 0x3f575c64, v43, -v58
	v_fma_f32 v120, 0x3ed4b147, v42, -v82
	v_fmamk_f32 v121, v43, 0x3ed4b147, v83
	v_fmac_f32_e32 v82, 0x3ed4b147, v42
	v_fma_f32 v83, 0x3ed4b147, v43, -v83
	v_fma_f32 v122, 0xbe11bafb, v42, -v84
	v_fmamk_f32 v123, v43, 0xbe11bafb, v85
	v_fmac_f32_e32 v84, 0xbe11bafb, v42
	;; [unrolled: 4-line block ×3, first 2 shown]
	v_fma_f32 v87, 0xbf27a4f4, v43, -v87
	v_fma_f32 v126, 0xbf75a155, v42, -v45
	v_fmamk_f32 v127, v43, 0xbf75a155, v34
	v_fma_f32 v34, 0xbf75a155, v43, -v34
	v_add_f32_e32 v8, v8, v37
	v_add_f32_e32 v9, v9, v62
	v_fmac_f32_e32 v35, 0x3f575c64, v42
	v_fmac_f32_e32 v45, 0xbf75a155, v42
	v_fma_f32 v42, 0x3ed4b147, v46, -v88
	v_fmamk_f32 v43, v47, 0x3ed4b147, v89
	v_fmac_f32_e32 v88, 0x3ed4b147, v46
	v_fma_f32 v89, 0x3ed4b147, v47, -v89
	v_fma_f32 v128, 0xbf27a4f4, v46, -v90
	v_fmamk_f32 v129, v47, 0xbf27a4f4, v91
	v_fmac_f32_e32 v90, 0xbf27a4f4, v46
	v_fma_f32 v91, 0xbf27a4f4, v47, -v91
	;; [unrolled: 4-line block ×20, first 2 shown]
	v_add_f32_e32 v36, v32, v36
	v_add_f32_e32 v37, v33, v60
	;; [unrolled: 1-line block ×112, first 2 shown]
	ds_write2_b64 v74, v[40:41], v[42:43] offset0:34 offset1:51
	ds_write2_b64 v74, v[48:49], v[50:51] offset0:68 offset1:85
	;; [unrolled: 1-line block ×4, first 2 shown]
	ds_write_b64 v74, v[8:9] offset:1360
	ds_write2_b64 v74, v[32:33], v[34:35] offset1:17
	s_waitcnt lgkmcnt(0)
	s_barrier
	buffer_gl0_inv
	s_and_saveexec_b32 s8, vcc_lo
	s_cbranch_execz .LBB0_9
; %bb.8:
	s_add_u32 s4, s6, 0x5d8
	s_addc_u32 s5, s7, 0
	s_clause 0x10
	global_load_dwordx2 v[67:68], v70, s[6:7] offset:1496
	global_load_dwordx2 v[96:97], v70, s[4:5] offset:88
	;; [unrolled: 1-line block ×17, first 2 shown]
	ds_read2_b64 v[55:58], v74 offset1:11
	ds_read2_b64 v[59:62], v74 offset0:22 offset1:33
	ds_read2_b64 v[63:66], v74 offset0:44 offset1:55
	;; [unrolled: 1-line block ×7, first 2 shown]
	ds_read_b64 v[128:129], v74 offset:1408
	s_waitcnt vmcnt(16) lgkmcnt(8)
	v_mul_f32_e32 v130, v56, v68
	v_mul_f32_e32 v131, v55, v68
	s_waitcnt vmcnt(15)
	v_mul_f32_e32 v132, v58, v97
	v_mul_f32_e32 v68, v57, v97
	s_waitcnt vmcnt(14) lgkmcnt(7)
	v_mul_f32_e32 v133, v60, v99
	v_mul_f32_e32 v97, v59, v99
	s_waitcnt vmcnt(13)
	v_mul_f32_e32 v134, v62, v101
	v_mul_f32_e32 v99, v61, v101
	;; [unrolled: 6-line block ×8, first 2 shown]
	s_waitcnt vmcnt(0) lgkmcnt(0)
	v_mul_f32_e32 v147, v129, v127
	v_mul_f32_e32 v125, v128, v127
	v_fma_f32 v130, v55, v67, -v130
	v_fmac_f32_e32 v131, v56, v67
	v_fma_f32 v67, v57, v96, -v132
	v_fmac_f32_e32 v68, v58, v96
	v_fma_f32 v96, v59, v98, -v133
	v_fmac_f32_e32 v97, v60, v98
	v_fma_f32 v98, v61, v100, -v134
	v_fmac_f32_e32 v99, v62, v100
	v_fma_f32 v100, v63, v102, -v135
	v_fmac_f32_e32 v101, v64, v102
	v_fma_f32 v102, v65, v104, -v136
	v_fmac_f32_e32 v103, v66, v104
	v_fma_f32 v104, v76, v106, -v137
	v_fmac_f32_e32 v105, v77, v106
	v_fma_f32 v106, v78, v108, -v138
	v_fmac_f32_e32 v107, v79, v108
	v_fma_f32 v108, v80, v110, -v139
	v_fmac_f32_e32 v109, v81, v110
	v_fma_f32 v110, v82, v112, -v140
	v_fmac_f32_e32 v111, v83, v112
	v_fma_f32 v112, v84, v114, -v141
	v_fmac_f32_e32 v113, v85, v114
	v_fma_f32 v114, v86, v116, -v142
	v_fmac_f32_e32 v115, v87, v116
	v_fma_f32 v116, v88, v118, -v143
	v_fmac_f32_e32 v117, v89, v118
	v_fma_f32 v118, v90, v120, -v144
	v_fmac_f32_e32 v119, v91, v120
	v_fma_f32 v120, v92, v122, -v145
	v_fmac_f32_e32 v121, v93, v122
	v_fma_f32 v122, v94, v124, -v146
	v_fmac_f32_e32 v123, v95, v124
	v_fma_f32 v124, v128, v126, -v147
	v_fmac_f32_e32 v125, v129, v126
	ds_write2_b64 v74, v[130:131], v[67:68] offset1:11
	ds_write2_b64 v74, v[96:97], v[98:99] offset0:22 offset1:33
	ds_write2_b64 v74, v[100:101], v[102:103] offset0:44 offset1:55
	;; [unrolled: 1-line block ×7, first 2 shown]
	ds_write_b64 v74, v[124:125] offset:1408
.LBB0_9:
	s_or_b32 exec_lo, exec_lo, s8
	s_waitcnt lgkmcnt(0)
	s_barrier
	buffer_gl0_inv
	s_and_saveexec_b32 s4, vcc_lo
	s_cbranch_execz .LBB0_11
; %bb.10:
	ds_read2_b64 v[32:35], v74 offset1:11
	ds_read2_b64 v[40:43], v74 offset0:22 offset1:33
	ds_read2_b64 v[48:51], v74 offset0:44 offset1:55
	ds_read2_b64 v[44:47], v74 offset0:66 offset1:77
	ds_read2_b64 v[36:39], v74 offset0:88 offset1:99
	ds_read2_b64 v[8:11], v74 offset0:110 offset1:121
	ds_read2_b64 v[4:7], v74 offset0:132 offset1:143
	ds_read2_b64 v[0:3], v74 offset0:154 offset1:165
	ds_read_b64 v[53:54], v74 offset:1408
.LBB0_11:
	s_or_b32 exec_lo, exec_lo, s4
	s_waitcnt lgkmcnt(0)
	s_barrier
	buffer_gl0_inv
	s_and_saveexec_b32 s4, vcc_lo
	s_cbranch_execz .LBB0_13
; %bb.12:
	v_add_f32_e32 v68, v54, v35
	v_sub_f32_e32 v81, v34, v53
	v_add_f32_e32 v195, v3, v41
	v_sub_f32_e32 v77, v40, v2
	v_add_f32_e32 v193, v1, v43
	v_mul_f32_e32 v95, 0xbf7ba420, v68
	v_sub_f32_e32 v78, v42, v0
	v_mul_f32_e32 v97, 0x3f6eb680, v195
	v_add_f32_e32 v188, v7, v49
	v_mul_f32_e32 v98, 0xbf59a7d5, v193
	v_fmamk_f32 v55, v81, 0x3e3c28d5, v95
	v_sub_f32_e32 v76, v48, v6
	v_fmamk_f32 v56, v77, 0xbeb8f4ab, v97
	v_add_f32_e32 v189, v5, v51
	v_mul_f32_e32 v99, 0x3f3d2fb0, v188
	v_add_f32_e32 v55, v33, v55
	v_fmamk_f32 v57, v78, 0x3f06c442, v98
	v_sub_f32_e32 v155, v35, v54
	v_sub_f32_e32 v79, v50, v4
	v_add_f32_e32 v67, v11, v45
	v_add_f32_e32 v55, v56, v55
	;; [unrolled: 1-line block ×3, first 2 shown]
	v_mul_f32_e32 v104, 0xbf1a4643, v189
	v_fmamk_f32 v56, v76, 0xbf2c7751, v99
	v_sub_f32_e32 v156, v41, v3
	v_add_f32_e32 v55, v57, v55
	v_mul_f32_e32 v103, 0xbe3c28d5, v155
	v_sub_f32_e32 v80, v44, v10
	v_mul_f32_e32 v101, 0x3ee437d1, v67
	v_fmamk_f32 v57, v79, 0x3f4c4adb, v104
	v_add_f32_e32 v55, v56, v55
	v_add_f32_e32 v84, v2, v40
	v_mul_f32_e32 v102, 0x3eb8f4ab, v156
	v_fmamk_f32 v58, v83, 0xbf7ba420, v103
	v_sub_f32_e32 v168, v43, v1
	v_fmamk_f32 v56, v80, 0xbf65296c, v101
	v_add_f32_e32 v55, v57, v55
	v_fmamk_f32 v57, v84, 0x3f6eb680, v102
	v_add_f32_e32 v58, v32, v58
	v_add_f32_e32 v86, v0, v42
	v_mul_f32_e32 v96, 0xbf06c442, v168
	v_sub_f32_e32 v175, v49, v7
	v_add_f32_e32 v178, v9, v47
	v_add_f32_e32 v55, v56, v55
	;; [unrolled: 1-line block ×3, first 2 shown]
	v_fmamk_f32 v57, v86, 0xbf59a7d5, v96
	v_add_f32_e32 v87, v6, v48
	v_mul_f32_e32 v92, 0x3f2c7751, v175
	v_sub_f32_e32 v176, v51, v5
	v_mul_f32_e32 v100, 0xbe8c1d8e, v178
	v_sub_f32_e32 v82, v46, v8
	v_add_f32_e32 v181, v39, v37
	v_add_f32_e32 v56, v57, v56
	v_fmamk_f32 v57, v87, 0x3f3d2fb0, v92
	v_add_f32_e32 v88, v4, v50
	v_mul_f32_e32 v93, 0xbf4c4adb, v176
	v_sub_f32_e32 v172, v45, v11
	v_fmamk_f32 v58, v82, 0x3f763a35, v100
	v_mul_f32_e32 v107, 0x3dbcf732, v181
	v_sub_f32_e32 v85, v36, v38
	v_add_f32_e32 v56, v57, v56
	v_fmamk_f32 v57, v88, 0xbf1a4643, v93
	v_add_f32_e32 v89, v10, v44
	v_mul_f32_e32 v94, 0x3f65296c, v172
	v_mul_f32_e32 v122, 0xbf59a7d5, v68
	v_add_f32_e32 v55, v58, v55
	v_fmamk_f32 v58, v85, 0xbf7ee86f, v107
	v_add_f32_e32 v57, v57, v56
	v_fmamk_f32 v59, v89, 0x3ee437d1, v94
	v_fmamk_f32 v60, v81, 0x3f06c442, v122
	v_mul_f32_e32 v108, 0x3ee437d1, v195
	v_add_f32_e32 v56, v58, v55
	v_sub_f32_e32 v179, v47, v9
	v_add_f32_e32 v55, v59, v57
	v_add_f32_e32 v57, v33, v60
	v_fmamk_f32 v58, v77, 0xbf65296c, v108
	v_mul_f32_e32 v109, 0x3dbcf732, v193
	v_add_f32_e32 v91, v8, v46
	v_mul_f32_e32 v105, 0xbf763a35, v179
	v_sub_f32_e32 v180, v37, v39
	v_add_f32_e32 v57, v58, v57
	v_fmamk_f32 v58, v78, 0x3f7ee86f, v109
	v_mul_f32_e32 v113, 0xbf1a4643, v188
	v_fmamk_f32 v59, v91, 0xbe8c1d8e, v105
	v_add_f32_e32 v90, v38, v36
	v_mul_f32_e32 v106, 0x3f7ee86f, v180
	v_add_f32_e32 v57, v58, v57
	v_fmamk_f32 v58, v76, 0xbf4c4adb, v113
	v_mul_f32_e32 v114, 0x3f6eb680, v189
	v_add_f32_e32 v55, v59, v55
	v_fmamk_f32 v59, v90, 0x3dbcf732, v106
	;; [unrolled: 3-line block ×85, first 2 shown]
	v_mul_f32_e32 v204, 0x3ee437d1, v178
	v_add_f32_e32 v35, v35, v33
	v_add_f32_e32 v206, v32, v133
	v_fmamk_f32 v208, v84, 0x3dbcf732, v218
	v_mul_f32_e32 v183, 0xbf4c4adb, v168
	v_add_f32_e32 v197, v197, v184
	v_fmamk_f32 v209, v82, 0xbf65296c, v204
	v_mul_f32_e32 v133, 0x3f6eb680, v181
	v_add_f32_e32 v35, v41, v35
	v_add_f32_e32 v34, v34, v32
	v_add_f32_e32 v208, v208, v206
	v_fmamk_f32 v210, v86, 0xbf1a4643, v183
	v_mul_f32_e32 v184, 0xbe3c28d5, v175
	v_add_f32_e32 v209, v209, v197
	v_fmamk_f32 v219, v85, 0xbeb8f4ab, v133
	v_mul_f32_e32 v206, 0x3f6eb680, v68
	v_add_f32_e32 v35, v43, v35
	;; [unrolled: 8-line block ×6, first 2 shown]
	v_add_f32_e32 v34, v44, v34
	v_add_f32_e32 v219, v222, v219
	v_fmamk_f32 v222, v90, 0x3f6eb680, v188
	v_add_f32_e32 v220, v221, v220
	v_fmamk_f32 v221, v79, 0x3f763a35, v189
	v_mul_f32_e32 v41, 0xbf1a4643, v67
	v_add_f32_e32 v35, v37, v35
	v_add_f32_e32 v34, v46, v34
	;; [unrolled: 1-line block ×4, first 2 shown]
	v_fmamk_f32 v43, v80, 0x3f4c4adb, v41
	v_mul_f32_e32 v40, 0xbf59a7d5, v178
	v_mul_f32_e32 v155, 0xbeb8f4ab, v155
	v_add_f32_e32 v39, v39, v35
	v_add_f32_e32 v34, v36, v34
	;; [unrolled: 1-line block ×3, first 2 shown]
	v_fmamk_f32 v43, v82, 0x3f06c442, v40
	v_fmamk_f32 v49, v83, 0x3f6eb680, v155
	v_mul_f32_e32 v48, 0xbf2c7751, v156
	v_add_f32_e32 v9, v9, v39
	v_add_f32_e32 v34, v38, v34
	v_fmac_f32_e32 v95, 0xbe3c28d5, v81
	v_add_f32_e32 v43, v43, v42
	v_add_f32_e32 v49, v32, v49
	v_fmamk_f32 v45, v84, 0x3f3d2fb0, v48
	v_mul_f32_e32 v50, 0xbf65296c, v168
	v_mul_f32_e32 v42, 0xbf7ba420, v181
	v_add_f32_e32 v9, v11, v9
	v_add_f32_e32 v8, v8, v34
	;; [unrolled: 1-line block ×3, first 2 shown]
	v_fmac_f32_e32 v97, 0x3eb8f4ab, v77
	v_add_f32_e32 v44, v45, v49
	v_fmamk_f32 v45, v86, 0x3ee437d1, v50
	v_mul_f32_e32 v47, 0xbf7ee86f, v175
	v_fmamk_f32 v37, v85, 0x3e3c28d5, v42
	v_add_f32_e32 v5, v5, v9
	v_add_f32_e32 v8, v10, v8
	;; [unrolled: 1-line block ×3, first 2 shown]
	v_fmac_f32_e32 v98, 0xbf06c442, v78
	v_add_f32_e32 v44, v45, v44
	v_fmamk_f32 v45, v87, 0x3dbcf732, v47
	v_add_f32_e32 v35, v37, v43
	v_mul_f32_e32 v43, 0xbf763a35, v176
	v_add_f32_e32 v5, v7, v5
	v_add_f32_e32 v4, v4, v8
	v_add_f32_e32 v7, v98, v9
	v_fmac_f32_e32 v99, 0x3f2c7751, v76
	v_add_f32_e32 v36, v45, v44
	v_fmamk_f32 v37, v88, 0xbe8c1d8e, v43
	v_mul_f32_e32 v38, 0xbf4c4adb, v172
	v_add_f32_e32 v1, v1, v5
	v_add_f32_e32 v4, v6, v4
	v_add_f32_e32 v5, v99, v7
	v_fmac_f32_e32 v104, 0xbf4c4adb, v79
	v_add_f32_e32 v34, v37, v36
	v_fmamk_f32 v36, v89, 0xbf1a4643, v38
	;; [unrolled: 7-line block ×3, first 2 shown]
	v_mul_f32_e32 v44, 0xbe3c28d5, v180
	v_fma_f32 v4, 0xbf7ba420, v83, -v103
	v_add_f32_e32 v0, v2, v0
	v_add_f32_e32 v2, v101, v3
	v_fmac_f32_e32 v100, 0xbf763a35, v82
	v_add_f32_e32 v6, v8, v10
	v_fmamk_f32 v7, v90, 0xbf7ba420, v44
	v_add_f32_e32 v3, v32, v4
	v_fma_f32 v4, 0x3f6eb680, v84, -v102
	v_fmac_f32_e32 v122, 0xbf06c442, v81
	v_add_f32_e32 v2, v100, v2
	v_fmac_f32_e32 v107, 0x3f7ee86f, v85
	v_add_f32_e32 v34, v7, v6
	v_add_f32_e32 v4, v4, v3
	v_fma_f32 v5, 0xbf59a7d5, v86, -v96
	v_add_f32_e32 v6, v33, v122
	v_fmac_f32_e32 v108, 0x3f65296c, v77
	v_add_f32_e32 v3, v107, v2
	v_fma_f32 v2, 0xbf59a7d5, v83, -v126
	v_add_f32_e32 v4, v5, v4
	v_fma_f32 v5, 0x3f3d2fb0, v87, -v92
	v_add_f32_e32 v6, v108, v6
	v_fmac_f32_e32 v109, 0xbf7ee86f, v78
	v_add_f32_e32 v2, v32, v2
	v_fma_f32 v7, 0x3ee437d1, v84, -v127
	;; [unrolled: 6-line block ×6, first 2 shown]
	v_fmac_f32_e32 v124, 0xbf4c4adb, v81
	v_add_f32_e32 v2, v5, v4
	v_add_f32_e32 v4, v115, v6
	v_fmac_f32_e32 v116, 0xbf763a35, v85
	v_add_f32_e32 v6, v8, v7
	v_fma_f32 v7, 0x3f3d2fb0, v91, -v136
	v_add_f32_e32 v8, v33, v124
	v_fmac_f32_e32 v121, 0x3f763a35, v77
	v_add_f32_e32 v5, v116, v4
	v_fma_f32 v4, 0xbf1a4643, v83, -v138
	v_add_f32_e32 v6, v7, v6
	v_fma_f32 v7, 0xbe8c1d8e, v90, -v123
	v_add_f32_e32 v8, v121, v8
	v_fmac_f32_e32 v110, 0xbeb8f4ab, v78
	v_add_f32_e32 v9, v32, v4
	v_fma_f32 v10, 0xbe8c1d8e, v84, -v140
	v_add_f32_e32 v4, v7, v6
	v_fmac_f32_e32 v158, 0xbf763a35, v81
	v_add_f32_e32 v6, v110, v8
	v_fmac_f32_e32 v111, 0xbf06c442, v76
	v_add_f32_e32 v7, v10, v9
	v_fma_f32 v8, 0x3f6eb680, v86, -v129
	v_add_f32_e32 v9, v33, v158
	v_fmac_f32_e32 v159, 0x3f06c442, v77
	;; [unrolled: 6-line block ×6, first 2 shown]
	v_add_f32_e32 v7, v119, v6
	v_fma_f32 v6, 0xbe8c1d8e, v83, -v163
	v_add_f32_e32 v8, v10, v8
	v_fma_f32 v10, 0x3ee437d1, v90, -v132
	v_add_f32_e32 v9, v164, v9
	v_fmac_f32_e32 v144, 0xbeb8f4ab, v82
	v_add_f32_e32 v11, v32, v6
	v_fma_f32 v36, 0xbf59a7d5, v84, -v165
	v_fmac_f32_e32 v177, 0xbf7ee86f, v81
	v_add_f32_e32 v6, v10, v8
	v_add_f32_e32 v8, v144, v9
	v_fmac_f32_e32 v145, 0xbf4c4adb, v85
	v_add_f32_e32 v10, v36, v11
	v_fma_f32 v11, 0x3f3d2fb0, v86, -v146
	v_add_f32_e32 v36, v33, v177
	v_fmac_f32_e32 v149, 0xbe3c28d5, v77
	v_add_f32_e32 v9, v145, v8
	v_fma_f32 v8, 0x3dbcf732, v83, -v186
	v_add_f32_e32 v10, v11, v10
	v_fma_f32 v11, 0x3ee437d1, v87, -v125
	v_add_f32_e32 v36, v149, v36
	v_fmac_f32_e32 v150, 0x3f763a35, v78
	v_add_f32_e32 v8, v32, v8
	v_fma_f32 v37, 0xbf7ba420, v84, -v187
	;; [unrolled: 6-line block ×6, first 2 shown]
	v_add_f32_e32 v8, v11, v10
	v_fmac_f32_e32 v185, 0xbf65296c, v81
	v_add_f32_e32 v10, v166, v36
	v_fmac_f32_e32 v167, 0x3f2c7751, v85
	v_add_f32_e32 v36, v45, v37
	v_fma_f32 v37, 0xbf1a4643, v91, -v198
	v_add_f32_e32 v45, v33, v185
	v_fmac_f32_e32 v174, 0xbf4c4adb, v77
	v_add_f32_e32 v11, v167, v10
	v_fma_f32 v10, 0x3ee437d1, v83, -v199
	v_add_f32_e32 v36, v37, v36
	v_fma_f32 v37, 0x3f3d2fb0, v90, -v182
	v_add_f32_e32 v45, v174, v45
	v_fmac_f32_e32 v151, 0x3e3c28d5, v78
	v_add_f32_e32 v46, v32, v10
	v_fma_f32 v49, 0xbf1a4643, v84, -v200
	v_fmac_f32_e32 v211, 0xbf2c7751, v81
	v_add_f32_e32 v10, v37, v36
	v_add_f32_e32 v36, v151, v45
	v_fmac_f32_e32 v152, 0x3f763a35, v76
	v_add_f32_e32 v37, v49, v46
	v_fma_f32 v45, 0xbf7ba420, v86, -v191
	v_add_f32_e32 v46, v33, v211
	v_fmac_f32_e32 v212, 0xbf7ee86f, v77
	v_add_f32_e32 v36, v152, v36
	v_fmac_f32_e32 v153, 0x3f2c7751, v79
	v_add_f32_e32 v37, v45, v37
	v_fma_f32 v45, 0xbe8c1d8e, v87, -v192
	v_add_f32_e32 v46, v212, v46
	v_fmac_f32_e32 v213, 0xbf4c4adb, v78
	;; [unrolled: 6-line block ×5, first 2 shown]
	v_add_f32_e32 v37, v171, v36
	v_fma_f32 v36, 0x3f3d2fb0, v83, -v216
	v_add_f32_e32 v45, v49, v45
	v_fma_f32 v49, 0xbf59a7d5, v90, -v196
	v_add_f32_e32 v46, v217, v46
	v_fmac_f32_e32 v204, 0x3f65296c, v82
	v_add_f32_e32 v51, v32, v36
	v_fmac_f32_e32 v206, 0xbeb8f4ab, v81
	v_add_f32_e32 v36, v49, v45
	v_add_f32_e32 v0, v53, v0
	;; [unrolled: 1-line block ×3, first 2 shown]
	v_fma_f32 v46, 0x3f6eb680, v83, -v155
	v_fma_f32 v53, 0x3dbcf732, v84, -v218
	v_add_f32_e32 v33, v33, v206
	v_fmac_f32_e32 v208, 0xbf2c7751, v77
	v_fmac_f32_e32 v209, 0xbf65296c, v78
	v_add_f32_e32 v32, v32, v46
	v_fma_f32 v46, 0x3f3d2fb0, v84, -v48
	v_add_f32_e32 v49, v53, v51
	v_fma_f32 v51, 0xbf1a4643, v86, -v183
	v_add_f32_e32 v33, v208, v33
	v_fmac_f32_e32 v210, 0xbf7ee86f, v76
	v_add_f32_e32 v32, v46, v32
	v_fma_f32 v46, 0x3ee437d1, v86, -v50
	v_add_f32_e32 v48, v51, v49
	v_fma_f32 v49, 0xbf7ba420, v87, -v184
	v_add_f32_e32 v33, v209, v33
	;; [unrolled: 6-line block ×3, first 2 shown]
	v_fma_f32 v43, 0xbe8c1d8e, v88, -v43
	v_add_f32_e32 v32, v46, v32
	v_fmac_f32_e32 v41, 0xbf4c4adb, v80
	v_add_f32_e32 v47, v49, v48
	v_fma_f32 v48, 0xbe8c1d8e, v89, -v195
	v_add_f32_e32 v33, v189, v33
	v_add_f32_e32 v32, v43, v32
	v_fma_f32 v38, 0xbf1a4643, v89, -v38
	v_fmac_f32_e32 v40, 0xbf06c442, v82
	v_add_f32_e32 v46, v48, v47
	v_fma_f32 v47, 0x3ee437d1, v91, -v193
	v_add_f32_e32 v33, v41, v33
	v_add_f32_e32 v32, v38, v32
	v_fma_f32 v38, 0xbf59a7d5, v91, -v39
	v_and_b32_e32 v41, 0xffff, v73
	v_add_f32_e32 v1, v54, v1
	v_fmac_f32_e32 v133, 0x3eb8f4ab, v85
	v_add_f32_e32 v43, v47, v46
	v_fma_f32 v39, 0x3f6eb680, v90, -v188
	v_add_f32_e32 v40, v40, v33
	v_fmac_f32_e32 v42, 0xbe3c28d5, v85
	v_add_f32_e32 v38, v38, v32
	v_fma_f32 v44, 0xbf7ba420, v90, -v44
	v_lshl_add_u32 v41, v41, 3, v72
	v_add_f32_e32 v33, v133, v45
	v_add_f32_e32 v32, v39, v43
	;; [unrolled: 1-line block ×4, first 2 shown]
	ds_write2_b64 v41, v[0:1], v[34:35] offset1:1
	ds_write2_b64 v41, v[67:68], v[65:66] offset0:2 offset1:3
	ds_write2_b64 v41, v[63:64], v[61:62] offset0:4 offset1:5
	;; [unrolled: 1-line block ×7, first 2 shown]
	ds_write_b64 v41, v[38:39] offset:128
.LBB0_13:
	s_or_b32 exec_lo, exec_lo, s4
	s_waitcnt lgkmcnt(0)
	s_barrier
	buffer_gl0_inv
	ds_read2_b64 v[0:3], v75 offset1:17
	ds_read2_b64 v[4:7], v75 offset0:34 offset1:51
	ds_read2_b64 v[8:11], v75 offset0:68 offset1:85
	;; [unrolled: 1-line block ×4, first 2 shown]
	ds_read_b64 v[40:41], v75 offset:1360
	s_waitcnt lgkmcnt(5)
	v_mul_f32_e32 v42, v29, v3
	v_mul_f32_e32 v29, v29, v2
	s_waitcnt lgkmcnt(4)
	v_mul_f32_e32 v43, v31, v5
	v_mul_f32_e32 v31, v31, v4
	;; [unrolled: 1-line block ×3, first 2 shown]
	v_fmac_f32_e32 v42, v28, v2
	v_fma_f32 v2, v28, v3, -v29
	v_mul_f32_e32 v21, v21, v6
	v_fmac_f32_e32 v43, v30, v4
	v_fma_f32 v4, v30, v5, -v31
	v_add_f32_e32 v3, v0, v42
	v_add_f32_e32 v5, v1, v2
	s_waitcnt lgkmcnt(3)
	v_mul_f32_e32 v45, v23, v9
	v_mul_f32_e32 v23, v23, v8
	v_fmac_f32_e32 v44, v20, v6
	v_fma_f32 v6, v20, v7, -v21
	v_add_f32_e32 v3, v3, v43
	v_add_f32_e32 v5, v5, v4
	v_mul_f32_e32 v46, v17, v11
	v_mul_f32_e32 v17, v17, v10
	v_fmac_f32_e32 v45, v22, v8
	v_fma_f32 v8, v22, v9, -v23
	v_add_f32_e32 v3, v3, v44
	v_add_f32_e32 v5, v5, v6
	s_waitcnt lgkmcnt(2)
	v_mul_f32_e32 v47, v19, v33
	v_mul_f32_e32 v19, v19, v32
	v_fmac_f32_e32 v46, v16, v10
	v_fma_f32 v10, v16, v11, -v17
	v_add_f32_e32 v3, v3, v45
	v_add_f32_e32 v5, v5, v8
	v_mul_f32_e32 v48, v13, v35
	;; [unrolled: 13-line block ×3, first 2 shown]
	v_mul_f32_e32 v25, v25, v38
	s_waitcnt lgkmcnt(0)
	v_mul_f32_e32 v9, v27, v40
	v_fmac_f32_e32 v49, v14, v36
	v_fma_f32 v13, v14, v37, -v15
	v_add_f32_e32 v3, v3, v48
	v_add_f32_e32 v5, v5, v12
	v_mul_f32_e32 v7, v27, v41
	v_fma_f32 v9, v26, v41, -v9
	v_fmac_f32_e32 v28, v24, v38
	v_fma_f32 v15, v24, v39, -v25
	v_add_f32_e32 v3, v3, v49
	v_add_f32_e32 v5, v5, v13
	v_fmac_f32_e32 v7, v26, v40
	v_sub_f32_e32 v14, v2, v9
	v_add_f32_e32 v18, v2, v9
	v_add_f32_e32 v2, v3, v28
	;; [unrolled: 1-line block ×4, first 2 shown]
	v_mul_f32_e32 v17, 0xbf0a6770, v14
	v_sub_f32_e32 v19, v42, v7
	v_mul_f32_e32 v20, 0x3f575c64, v18
	v_add_f32_e32 v3, v3, v9
	v_mul_f32_e32 v9, 0xbf68dda4, v14
	v_mul_f32_e32 v21, 0x3ed4b147, v18
	;; [unrolled: 1-line block ×8, first 2 shown]
	v_sub_f32_e32 v35, v4, v15
	v_add_f32_e32 v4, v4, v15
	v_fmamk_f32 v5, v16, 0x3f575c64, v17
	v_add_f32_e32 v2, v2, v7
	v_fmamk_f32 v7, v19, 0x3f0a6770, v20
	v_fma_f32 v17, 0x3f575c64, v16, -v17
	v_fmac_f32_e32 v20, 0xbf0a6770, v19
	v_fmamk_f32 v22, v16, 0x3ed4b147, v9
	v_fmamk_f32 v23, v19, 0x3f68dda4, v21
	v_fma_f32 v9, 0x3ed4b147, v16, -v9
	v_fmac_f32_e32 v21, 0xbf68dda4, v19
	v_fmamk_f32 v25, v16, 0xbe11bafb, v24
	;; [unrolled: 4-line block ×4, first 2 shown]
	v_fmamk_f32 v34, v19, 0x3e903f40, v18
	v_add_f32_e32 v36, v43, v28
	v_mul_f32_e32 v15, 0xbf68dda4, v35
	v_fma_f32 v14, 0xbf75a155, v16, -v14
	v_fmac_f32_e32 v18, 0xbe903f40, v19
	v_sub_f32_e32 v16, v43, v28
	v_mul_f32_e32 v19, 0x3ed4b147, v4
	v_add_f32_e32 v5, v0, v5
	v_add_f32_e32 v7, v1, v7
	;; [unrolled: 1-line block ×18, first 2 shown]
	v_fmamk_f32 v28, v36, 0x3ed4b147, v15
	v_add_f32_e32 v0, v0, v14
	v_add_f32_e32 v1, v1, v18
	v_mul_f32_e32 v14, 0xbf4178ce, v35
	v_fmamk_f32 v18, v16, 0x3f68dda4, v19
	v_add_f32_e32 v5, v28, v5
	v_fma_f32 v15, 0x3ed4b147, v36, -v15
	v_fmac_f32_e32 v19, 0xbf68dda4, v16
	v_fmamk_f32 v28, v36, 0xbf27a4f4, v14
	v_add_f32_e32 v7, v18, v7
	v_mul_f32_e32 v18, 0xbf27a4f4, v4
	v_add_f32_e32 v15, v15, v17
	v_add_f32_e32 v17, v19, v20
	;; [unrolled: 1-line block ×3, first 2 shown]
	v_mul_f32_e32 v20, 0x3e903f40, v35
	v_fmamk_f32 v22, v16, 0x3f4178ce, v18
	v_fma_f32 v14, 0xbf27a4f4, v36, -v14
	v_fmac_f32_e32 v18, 0xbf4178ce, v16
	v_mul_f32_e32 v28, 0xbf75a155, v4
	v_fmamk_f32 v37, v36, 0xbf75a155, v20
	v_add_f32_e32 v22, v22, v23
	v_add_f32_e32 v9, v14, v9
	;; [unrolled: 1-line block ×3, first 2 shown]
	v_fmamk_f32 v18, v16, 0xbe903f40, v28
	v_mul_f32_e32 v23, 0x3f7d64f0, v35
	v_fma_f32 v20, 0xbf75a155, v36, -v20
	v_fmac_f32_e32 v28, 0x3e903f40, v16
	v_add_f32_e32 v21, v37, v25
	v_add_f32_e32 v18, v18, v29
	v_fmamk_f32 v29, v36, 0xbe11bafb, v23
	v_add_f32_e32 v20, v20, v24
	v_add_f32_e32 v24, v28, v26
	v_mul_f32_e32 v26, 0x3f0a6770, v35
	v_mul_f32_e32 v25, 0xbe11bafb, v4
	v_add_f32_e32 v29, v29, v30
	v_fma_f32 v23, 0xbe11bafb, v36, -v23
	v_mul_f32_e32 v4, 0x3f575c64, v4
	v_fmamk_f32 v30, v36, 0x3f575c64, v26
	v_fmamk_f32 v28, v16, 0xbf7d64f0, v25
	v_fmac_f32_e32 v25, 0x3f7d64f0, v16
	v_add_f32_e32 v23, v23, v27
	v_fma_f32 v26, 0x3f575c64, v36, -v26
	v_add_f32_e32 v27, v30, v33
	v_sub_f32_e32 v30, v6, v13
	v_add_f32_e32 v6, v6, v13
	v_add_f32_e32 v28, v28, v32
	v_add_f32_e32 v25, v25, v31
	v_fmamk_f32 v31, v16, 0xbf0a6770, v4
	v_add_f32_e32 v13, v44, v49
	v_mul_f32_e32 v32, 0xbf7d64f0, v30
	v_fmac_f32_e32 v4, 0x3f0a6770, v16
	v_sub_f32_e32 v16, v44, v49
	v_mul_f32_e32 v33, 0xbe11bafb, v6
	v_add_f32_e32 v31, v31, v34
	v_fmamk_f32 v34, v13, 0xbe11bafb, v32
	v_add_f32_e32 v0, v26, v0
	v_add_f32_e32 v1, v4, v1
	v_fmamk_f32 v4, v16, 0x3f7d64f0, v33
	v_mul_f32_e32 v26, 0x3e903f40, v30
	v_add_f32_e32 v5, v34, v5
	v_mul_f32_e32 v34, 0xbf75a155, v6
	v_fma_f32 v32, 0xbe11bafb, v13, -v32
	v_add_f32_e32 v4, v4, v7
	v_fmamk_f32 v7, v13, 0xbf75a155, v26
	v_fma_f32 v26, 0xbf75a155, v13, -v26
	v_mul_f32_e32 v35, 0x3ed4b147, v6
	v_fmac_f32_e32 v33, 0xbf7d64f0, v16
	v_add_f32_e32 v15, v32, v15
	v_add_f32_e32 v7, v7, v19
	v_fmamk_f32 v19, v16, 0xbe903f40, v34
	v_mul_f32_e32 v32, 0x3f68dda4, v30
	v_add_f32_e32 v9, v26, v9
	v_mul_f32_e32 v26, 0xbf0a6770, v30
	v_add_f32_e32 v17, v33, v17
	v_add_f32_e32 v19, v19, v22
	v_fmamk_f32 v22, v16, 0xbf68dda4, v35
	v_fmamk_f32 v33, v13, 0x3ed4b147, v32
	v_mul_f32_e32 v30, 0xbf4178ce, v30
	v_fma_f32 v32, 0x3ed4b147, v13, -v32
	v_fmac_f32_e32 v34, 0x3e903f40, v16
	v_add_f32_e32 v18, v22, v18
	v_fmamk_f32 v22, v13, 0x3f575c64, v26
	v_fma_f32 v26, 0x3f575c64, v13, -v26
	v_add_f32_e32 v21, v33, v21
	v_mul_f32_e32 v33, 0x3f575c64, v6
	v_mul_f32_e32 v6, 0xbf27a4f4, v6
	v_add_f32_e32 v22, v22, v29
	v_fmamk_f32 v29, v13, 0xbf27a4f4, v30
	v_add_f32_e32 v23, v26, v23
	v_sub_f32_e32 v26, v8, v12
	v_add_f32_e32 v8, v8, v12
	v_fmac_f32_e32 v35, 0x3f68dda4, v16
	v_add_f32_e32 v20, v32, v20
	v_fmamk_f32 v32, v16, 0x3f0a6770, v33
	v_fmac_f32_e32 v33, 0xbf0a6770, v16
	v_add_f32_e32 v27, v29, v27
	v_fmamk_f32 v29, v16, 0x3f4178ce, v6
	v_fma_f32 v13, 0xbf27a4f4, v13, -v30
	v_fmac_f32_e32 v6, 0xbf4178ce, v16
	v_sub_f32_e32 v16, v45, v48
	v_mul_f32_e32 v30, 0xbf27a4f4, v8
	v_add_f32_e32 v28, v32, v28
	v_add_f32_e32 v32, v45, v48
	v_mul_f32_e32 v12, 0xbf4178ce, v26
	v_add_f32_e32 v1, v6, v1
	v_fmamk_f32 v6, v16, 0x3f4178ce, v30
	v_add_f32_e32 v25, v33, v25
	v_add_f32_e32 v0, v13, v0
	v_fmamk_f32 v33, v32, 0xbf27a4f4, v12
	v_mul_f32_e32 v13, 0x3f7d64f0, v26
	v_fma_f32 v12, 0xbf27a4f4, v32, -v12
	v_fmac_f32_e32 v30, 0xbf4178ce, v16
	v_add_f32_e32 v4, v6, v4
	v_mul_f32_e32 v6, 0xbe11bafb, v8
	v_add_f32_e32 v14, v34, v14
	v_add_f32_e32 v29, v29, v31
	v_fmamk_f32 v31, v32, 0xbe11bafb, v13
	v_add_f32_e32 v12, v12, v15
	v_add_f32_e32 v15, v30, v17
	v_mul_f32_e32 v17, 0xbf0a6770, v26
	v_fmamk_f32 v30, v16, 0xbf7d64f0, v6
	v_fma_f32 v13, 0xbe11bafb, v32, -v13
	v_fmac_f32_e32 v6, 0x3f7d64f0, v16
	v_add_f32_e32 v7, v31, v7
	v_fmamk_f32 v31, v32, 0x3f575c64, v17
	v_add_f32_e32 v19, v30, v19
	v_mul_f32_e32 v30, 0x3f575c64, v8
	v_add_f32_e32 v9, v13, v9
	v_add_f32_e32 v13, v6, v14
	v_mul_f32_e32 v6, 0xbe903f40, v26
	v_add_f32_e32 v5, v33, v5
	v_add_f32_e32 v14, v31, v21
	v_fmamk_f32 v21, v16, 0x3f0a6770, v30
	v_fma_f32 v17, 0x3f575c64, v32, -v17
	v_mul_f32_e32 v31, 0xbf75a155, v8
	v_fmamk_f32 v33, v32, 0xbf75a155, v6
	v_add_f32_e32 v24, v35, v24
	v_fmac_f32_e32 v30, 0xbf0a6770, v16
	v_add_f32_e32 v18, v21, v18
	v_add_f32_e32 v17, v17, v20
	v_fmamk_f32 v20, v16, 0x3e903f40, v31
	v_add_f32_e32 v21, v33, v22
	v_mul_f32_e32 v22, 0x3f68dda4, v26
	v_mul_f32_e32 v8, 0x3ed4b147, v8
	v_add_f32_e32 v24, v30, v24
	v_fma_f32 v6, 0xbf75a155, v32, -v6
	v_add_f32_e32 v20, v20, v28
	v_fmamk_f32 v26, v32, 0x3ed4b147, v22
	v_fmamk_f32 v28, v16, 0xbf68dda4, v8
	v_sub_f32_e32 v30, v10, v11
	v_add_f32_e32 v23, v6, v23
	v_fmac_f32_e32 v8, 0x3f68dda4, v16
	v_add_f32_e32 v26, v26, v27
	v_add_f32_e32 v27, v28, v29
	;; [unrolled: 1-line block ×3, first 2 shown]
	v_mul_f32_e32 v6, 0xbe903f40, v30
	v_fmac_f32_e32 v31, 0xbe903f40, v16
	v_add_f32_e32 v29, v10, v11
	v_fma_f32 v10, 0x3ed4b147, v32, -v22
	v_add_f32_e32 v32, v8, v1
	v_fmamk_f32 v11, v28, 0xbf75a155, v6
	v_mul_f32_e32 v8, 0x3f0a6770, v30
	v_add_f32_e32 v25, v31, v25
	v_sub_f32_e32 v22, v46, v47
	v_mul_f32_e32 v16, 0xbf75a155, v29
	v_add_f32_e32 v31, v10, v0
	v_add_f32_e32 v0, v11, v5
	v_fma_f32 v5, 0xbf75a155, v28, -v6
	v_fmamk_f32 v6, v28, 0x3f575c64, v8
	v_mul_f32_e32 v10, 0x3f575c64, v29
	v_fmamk_f32 v1, v22, 0x3e903f40, v16
	v_fmac_f32_e32 v16, 0xbe903f40, v22
	v_fma_f32 v8, 0x3f575c64, v28, -v8
	v_add_f32_e32 v6, v6, v7
	v_fmamk_f32 v7, v22, 0xbf0a6770, v10
	v_fmac_f32_e32 v10, 0x3f0a6770, v22
	v_mul_f32_e32 v33, 0xbf27a4f4, v29
	v_add_f32_e32 v1, v1, v4
	v_add_f32_e32 v4, v5, v12
	;; [unrolled: 1-line block ×3, first 2 shown]
	v_mul_f32_e32 v11, 0xbf4178ce, v30
	v_add_f32_e32 v8, v8, v9
	v_add_f32_e32 v9, v10, v13
	v_fmamk_f32 v13, v22, 0x3f4178ce, v33
	v_mul_f32_e32 v15, 0x3f68dda4, v30
	v_add_f32_e32 v7, v7, v19
	v_fmamk_f32 v12, v28, 0xbf27a4f4, v11
	v_fma_f32 v16, 0xbf27a4f4, v28, -v11
	v_mul_f32_e32 v19, 0x3ed4b147, v29
	v_add_f32_e32 v11, v13, v18
	v_fmamk_f32 v13, v28, 0x3ed4b147, v15
	v_add_f32_e32 v10, v12, v14
	v_add_f32_e32 v12, v16, v17
	v_fmamk_f32 v16, v22, 0xbf68dda4, v19
	v_fma_f32 v17, 0x3ed4b147, v28, -v15
	v_add_f32_e32 v14, v13, v21
	v_mul_f32_e32 v13, 0xbf7d64f0, v30
	v_mul_f32_e32 v21, 0xbe11bafb, v29
	v_add_f32_e32 v15, v16, v20
	v_fmac_f32_e32 v19, 0x3f68dda4, v22
	v_fmac_f32_e32 v33, 0xbf4178ce, v22
	v_fmamk_f32 v18, v28, 0xbe11bafb, v13
	v_fmamk_f32 v20, v22, 0x3f7d64f0, v21
	v_fma_f32 v13, 0xbe11bafb, v28, -v13
	v_fmac_f32_e32 v21, 0xbf7d64f0, v22
	v_add_f32_e32 v16, v17, v23
	v_add_f32_e32 v17, v19, v25
	;; [unrolled: 1-line block ×7, first 2 shown]
	ds_write2_b64 v74, v[2:3], v[0:1] offset1:17
	ds_write2_b64 v74, v[6:7], v[10:11] offset0:34 offset1:51
	ds_write2_b64 v74, v[14:15], v[18:19] offset0:68 offset1:85
	;; [unrolled: 1-line block ×4, first 2 shown]
	ds_write_b64 v74, v[4:5] offset:1360
	s_waitcnt lgkmcnt(0)
	s_barrier
	buffer_gl0_inv
	s_and_b32 exec_lo, exec_lo, vcc_lo
	s_cbranch_execz .LBB0_15
; %bb.14:
	global_load_dwordx2 v[0:1], v70, s[6:7]
	ds_read_b64 v[2:3], v74
	s_mov_b32 s4, 0xb8d015e7
	s_mov_b32 s5, 0x3f75e75b
	v_mad_u64_u32 v[6:7], null, s0, v71, 0
	s_mul_hi_u32 s8, s0, 0x58
	s_waitcnt vmcnt(0) lgkmcnt(0)
	v_mul_f32_e32 v4, v3, v1
	v_mul_f32_e32 v1, v2, v1
	v_fmac_f32_e32 v4, v2, v0
	v_fma_f32 v2, v0, v3, -v1
	v_cvt_f64_f32_e32 v[0:1], v4
	v_cvt_f64_f32_e32 v[2:3], v2
	v_mad_u64_u32 v[4:5], null, s2, v52, 0
	s_mul_i32 s2, s1, 0x58
	s_add_i32 s2, s8, s2
	v_mad_u64_u32 v[8:9], null, s3, v52, v[5:6]
	s_mul_i32 s3, s0, 0x58
	v_mad_u64_u32 v[9:10], null, s1, v71, v[7:8]
	v_mov_b32_e32 v5, v8
	v_mul_f64 v[0:1], v[0:1], s[4:5]
	v_mul_f64 v[2:3], v[2:3], s[4:5]
	v_mov_b32_e32 v7, v9
	v_cvt_f32_f64_e32 v0, v[0:1]
	v_cvt_f32_f64_e32 v1, v[2:3]
	v_lshlrev_b64 v[2:3], 3, v[4:5]
	v_lshlrev_b64 v[4:5], 3, v[6:7]
	v_add_co_u32 v8, vcc_lo, s12, v2
	v_add_co_ci_u32_e32 v9, vcc_lo, s13, v3, vcc_lo
	v_add_co_u32 v4, vcc_lo, v8, v4
	v_add_co_ci_u32_e32 v5, vcc_lo, v9, v5, vcc_lo
	global_store_dwordx2 v[4:5], v[0:1], off
	global_load_dwordx2 v[6:7], v70, s[6:7] offset:88
	ds_read2_b64 v[0:3], v74 offset0:11 offset1:22
	v_add_co_u32 v4, vcc_lo, v4, s3
	v_add_co_ci_u32_e32 v5, vcc_lo, s2, v5, vcc_lo
	s_waitcnt vmcnt(0) lgkmcnt(0)
	v_mul_f32_e32 v10, v1, v7
	v_mul_f32_e32 v7, v0, v7
	v_fmac_f32_e32 v10, v0, v6
	v_fma_f32 v6, v6, v1, -v7
	v_cvt_f64_f32_e32 v[0:1], v10
	v_cvt_f64_f32_e32 v[6:7], v6
	v_mul_f64 v[0:1], v[0:1], s[4:5]
	v_mul_f64 v[6:7], v[6:7], s[4:5]
	v_cvt_f32_f64_e32 v0, v[0:1]
	v_cvt_f32_f64_e32 v1, v[6:7]
	global_store_dwordx2 v[4:5], v[0:1], off
	global_load_dwordx2 v[0:1], v70, s[6:7] offset:176
	v_add_co_u32 v4, vcc_lo, v4, s3
	v_add_co_ci_u32_e32 v5, vcc_lo, s2, v5, vcc_lo
	s_waitcnt vmcnt(0)
	v_mul_f32_e32 v6, v3, v1
	v_mul_f32_e32 v1, v2, v1
	v_fmac_f32_e32 v6, v2, v0
	v_fma_f32 v2, v0, v3, -v1
	v_cvt_f64_f32_e32 v[0:1], v6
	v_cvt_f64_f32_e32 v[2:3], v2
	v_mul_f64 v[0:1], v[0:1], s[4:5]
	v_mul_f64 v[2:3], v[2:3], s[4:5]
	v_cvt_f32_f64_e32 v0, v[0:1]
	v_cvt_f32_f64_e32 v1, v[2:3]
	global_store_dwordx2 v[4:5], v[0:1], off
	global_load_dwordx2 v[6:7], v70, s[6:7] offset:264
	ds_read2_b64 v[0:3], v74 offset0:33 offset1:44
	v_add_co_u32 v4, vcc_lo, v4, s3
	v_add_co_ci_u32_e32 v5, vcc_lo, s2, v5, vcc_lo
	s_waitcnt vmcnt(0) lgkmcnt(0)
	v_mul_f32_e32 v10, v1, v7
	v_mul_f32_e32 v7, v0, v7
	v_fmac_f32_e32 v10, v0, v6
	v_fma_f32 v6, v6, v1, -v7
	v_cvt_f64_f32_e32 v[0:1], v10
	v_cvt_f64_f32_e32 v[6:7], v6
	v_mul_f64 v[0:1], v[0:1], s[4:5]
	v_mul_f64 v[6:7], v[6:7], s[4:5]
	v_cvt_f32_f64_e32 v0, v[0:1]
	v_cvt_f32_f64_e32 v1, v[6:7]
	global_store_dwordx2 v[4:5], v[0:1], off
	global_load_dwordx2 v[0:1], v70, s[6:7] offset:352
	v_add_co_u32 v4, vcc_lo, v4, s3
	v_add_co_ci_u32_e32 v5, vcc_lo, s2, v5, vcc_lo
	s_waitcnt vmcnt(0)
	v_mul_f32_e32 v6, v3, v1
	v_mul_f32_e32 v1, v2, v1
	v_fmac_f32_e32 v6, v2, v0
	v_fma_f32 v2, v0, v3, -v1
	v_cvt_f64_f32_e32 v[0:1], v6
	v_cvt_f64_f32_e32 v[2:3], v2
	v_mul_f64 v[0:1], v[0:1], s[4:5]
	v_mul_f64 v[2:3], v[2:3], s[4:5]
	v_cvt_f32_f64_e32 v0, v[0:1]
	v_cvt_f32_f64_e32 v1, v[2:3]
	;; [unrolled: 31-line block ×7, first 2 shown]
	global_store_dwordx2 v[4:5], v[0:1], off
	global_load_dwordx2 v[6:7], v70, s[6:7] offset:1320
	ds_read2_b64 v[0:3], v74 offset0:165 offset1:176
	v_add_co_u32 v4, vcc_lo, v4, s3
	v_add_co_ci_u32_e32 v5, vcc_lo, s2, v5, vcc_lo
	s_waitcnt vmcnt(0) lgkmcnt(0)
	v_mul_f32_e32 v10, v1, v7
	v_mul_f32_e32 v7, v0, v7
	v_fmac_f32_e32 v10, v0, v6
	v_fma_f32 v6, v6, v1, -v7
	v_cvt_f64_f32_e32 v[0:1], v10
	v_cvt_f64_f32_e32 v[6:7], v6
	v_mul_f64 v[0:1], v[0:1], s[4:5]
	v_mul_f64 v[6:7], v[6:7], s[4:5]
	v_cvt_f32_f64_e32 v0, v[0:1]
	v_cvt_f32_f64_e32 v1, v[6:7]
	global_store_dwordx2 v[4:5], v[0:1], off
	global_load_dwordx2 v[0:1], v70, s[6:7] offset:1408
	s_waitcnt vmcnt(0)
	v_mul_f32_e32 v4, v3, v1
	v_mul_f32_e32 v1, v2, v1
	v_fmac_f32_e32 v4, v2, v0
	v_fma_f32 v2, v0, v3, -v1
	v_cvt_f64_f32_e32 v[0:1], v4
	v_cvt_f64_f32_e32 v[2:3], v2
	v_mad_u64_u32 v[4:5], null, s0, v69, 0
	v_mad_u64_u32 v[5:6], null, s1, v69, v[5:6]
	v_mul_f64 v[0:1], v[0:1], s[4:5]
	v_mul_f64 v[2:3], v[2:3], s[4:5]
	v_cvt_f32_f64_e32 v0, v[0:1]
	v_cvt_f32_f64_e32 v1, v[2:3]
	v_lshlrev_b64 v[2:3], 3, v[4:5]
	v_add_co_u32 v2, vcc_lo, v8, v2
	v_add_co_ci_u32_e32 v3, vcc_lo, v9, v3, vcc_lo
	global_store_dwordx2 v[2:3], v[0:1], off
.LBB0_15:
	s_endpgm
	.section	.rodata,"a",@progbits
	.p2align	6, 0x0
	.amdhsa_kernel bluestein_single_fwd_len187_dim1_sp_op_CI_CI
		.amdhsa_group_segment_fixed_size 10472
		.amdhsa_private_segment_fixed_size 0
		.amdhsa_kernarg_size 104
		.amdhsa_user_sgpr_count 6
		.amdhsa_user_sgpr_private_segment_buffer 1
		.amdhsa_user_sgpr_dispatch_ptr 0
		.amdhsa_user_sgpr_queue_ptr 0
		.amdhsa_user_sgpr_kernarg_segment_ptr 1
		.amdhsa_user_sgpr_dispatch_id 0
		.amdhsa_user_sgpr_flat_scratch_init 0
		.amdhsa_user_sgpr_private_segment_size 0
		.amdhsa_wavefront_size32 1
		.amdhsa_uses_dynamic_stack 0
		.amdhsa_system_sgpr_private_segment_wavefront_offset 0
		.amdhsa_system_sgpr_workgroup_id_x 1
		.amdhsa_system_sgpr_workgroup_id_y 0
		.amdhsa_system_sgpr_workgroup_id_z 0
		.amdhsa_system_sgpr_workgroup_info 0
		.amdhsa_system_vgpr_workitem_id 0
		.amdhsa_next_free_vgpr 223
		.amdhsa_next_free_sgpr 14
		.amdhsa_reserve_vcc 1
		.amdhsa_reserve_flat_scratch 0
		.amdhsa_float_round_mode_32 0
		.amdhsa_float_round_mode_16_64 0
		.amdhsa_float_denorm_mode_32 3
		.amdhsa_float_denorm_mode_16_64 3
		.amdhsa_dx10_clamp 1
		.amdhsa_ieee_mode 1
		.amdhsa_fp16_overflow 0
		.amdhsa_workgroup_processor_mode 1
		.amdhsa_memory_ordered 1
		.amdhsa_forward_progress 0
		.amdhsa_shared_vgpr_count 0
		.amdhsa_exception_fp_ieee_invalid_op 0
		.amdhsa_exception_fp_denorm_src 0
		.amdhsa_exception_fp_ieee_div_zero 0
		.amdhsa_exception_fp_ieee_overflow 0
		.amdhsa_exception_fp_ieee_underflow 0
		.amdhsa_exception_fp_ieee_inexact 0
		.amdhsa_exception_int_div_zero 0
	.end_amdhsa_kernel
	.text
.Lfunc_end0:
	.size	bluestein_single_fwd_len187_dim1_sp_op_CI_CI, .Lfunc_end0-bluestein_single_fwd_len187_dim1_sp_op_CI_CI
                                        ; -- End function
	.section	.AMDGPU.csdata,"",@progbits
; Kernel info:
; codeLenInByte = 18468
; NumSgprs: 16
; NumVgprs: 223
; ScratchSize: 0
; MemoryBound: 0
; FloatMode: 240
; IeeeMode: 1
; LDSByteSize: 10472 bytes/workgroup (compile time only)
; SGPRBlocks: 1
; VGPRBlocks: 27
; NumSGPRsForWavesPerEU: 16
; NumVGPRsForWavesPerEU: 223
; Occupancy: 4
; WaveLimiterHint : 1
; COMPUTE_PGM_RSRC2:SCRATCH_EN: 0
; COMPUTE_PGM_RSRC2:USER_SGPR: 6
; COMPUTE_PGM_RSRC2:TRAP_HANDLER: 0
; COMPUTE_PGM_RSRC2:TGID_X_EN: 1
; COMPUTE_PGM_RSRC2:TGID_Y_EN: 0
; COMPUTE_PGM_RSRC2:TGID_Z_EN: 0
; COMPUTE_PGM_RSRC2:TIDIG_COMP_CNT: 0
	.text
	.p2alignl 6, 3214868480
	.fill 48, 4, 3214868480
	.type	__hip_cuid_13eb5141f6d88fdf,@object ; @__hip_cuid_13eb5141f6d88fdf
	.section	.bss,"aw",@nobits
	.globl	__hip_cuid_13eb5141f6d88fdf
__hip_cuid_13eb5141f6d88fdf:
	.byte	0                               ; 0x0
	.size	__hip_cuid_13eb5141f6d88fdf, 1

	.ident	"AMD clang version 19.0.0git (https://github.com/RadeonOpenCompute/llvm-project roc-6.4.0 25133 c7fe45cf4b819c5991fe208aaa96edf142730f1d)"
	.section	".note.GNU-stack","",@progbits
	.addrsig
	.addrsig_sym __hip_cuid_13eb5141f6d88fdf
	.amdgpu_metadata
---
amdhsa.kernels:
  - .args:
      - .actual_access:  read_only
        .address_space:  global
        .offset:         0
        .size:           8
        .value_kind:     global_buffer
      - .actual_access:  read_only
        .address_space:  global
        .offset:         8
        .size:           8
        .value_kind:     global_buffer
      - .actual_access:  read_only
        .address_space:  global
        .offset:         16
        .size:           8
        .value_kind:     global_buffer
      - .actual_access:  read_only
        .address_space:  global
        .offset:         24
        .size:           8
        .value_kind:     global_buffer
      - .actual_access:  read_only
        .address_space:  global
        .offset:         32
        .size:           8
        .value_kind:     global_buffer
      - .offset:         40
        .size:           8
        .value_kind:     by_value
      - .address_space:  global
        .offset:         48
        .size:           8
        .value_kind:     global_buffer
      - .address_space:  global
        .offset:         56
        .size:           8
        .value_kind:     global_buffer
      - .address_space:  global
        .offset:         64
        .size:           8
        .value_kind:     global_buffer
      - .address_space:  global
        .offset:         72
        .size:           8
        .value_kind:     global_buffer
      - .offset:         80
        .size:           4
        .value_kind:     by_value
      - .address_space:  global
        .offset:         88
        .size:           8
        .value_kind:     global_buffer
      - .address_space:  global
        .offset:         96
        .size:           8
        .value_kind:     global_buffer
    .group_segment_fixed_size: 10472
    .kernarg_segment_align: 8
    .kernarg_segment_size: 104
    .language:       OpenCL C
    .language_version:
      - 2
      - 0
    .max_flat_workgroup_size: 119
    .name:           bluestein_single_fwd_len187_dim1_sp_op_CI_CI
    .private_segment_fixed_size: 0
    .sgpr_count:     16
    .sgpr_spill_count: 0
    .symbol:         bluestein_single_fwd_len187_dim1_sp_op_CI_CI.kd
    .uniform_work_group_size: 1
    .uses_dynamic_stack: false
    .vgpr_count:     223
    .vgpr_spill_count: 0
    .wavefront_size: 32
    .workgroup_processor_mode: 1
amdhsa.target:   amdgcn-amd-amdhsa--gfx1030
amdhsa.version:
  - 1
  - 2
...

	.end_amdgpu_metadata
